;; amdgpu-corpus repo=ggml-org/llama.cpp kind=compiled arch=gfx1100 opt=O3
	.text
	.amdgcn_target "amdgcn-amd-amdhsa--gfx1100"
	.amdhsa_code_object_version 6
	.section	.text._ZL17soft_max_back_f32PKfS0_Pfif,"axG",@progbits,_ZL17soft_max_back_f32PKfS0_Pfif,comdat
	.globl	_ZL17soft_max_back_f32PKfS0_Pfif ; -- Begin function _ZL17soft_max_back_f32PKfS0_Pfif
	.p2align	8
	.type	_ZL17soft_max_back_f32PKfS0_Pfif,@function
_ZL17soft_max_back_f32PKfS0_Pfif:       ; @_ZL17soft_max_back_f32PKfS0_Pfif
; %bb.0:
	s_load_b256 s[4:11], s[0:1], 0x0
	v_dual_mov_b32 v6, 0 :: v_dual_lshlrev_b32 v5, 2, v0
	s_waitcnt lgkmcnt(0)
	v_cmp_gt_i32_e32 vcc_lo, s10, v0
	s_mul_hi_i32 s3, s15, s10
	s_mul_i32 s2, s15, s10
	s_and_saveexec_b32 s12, vcc_lo
	s_cbranch_execz .LBB0_4
; %bb.1:
	s_lshl_b64 s[0:1], s[2:3], 2
	v_dual_mov_b32 v6, 0 :: v_dual_mov_b32 v7, v0
	v_add_co_u32 v3, s0, s0, v5
	s_delay_alu instid0(VALU_DEP_1) | instskip(SKIP_1) | instid1(VALU_DEP_2)
	v_add_co_ci_u32_e64 v4, null, s1, 0, s0
	s_mov_b32 s13, 0
	v_add_co_u32 v1, s0, s6, v3
	s_delay_alu instid0(VALU_DEP_1) | instskip(SKIP_1) | instid1(VALU_DEP_1)
	v_add_co_ci_u32_e64 v2, s0, s7, v4, s0
	v_add_co_u32 v3, s0, s4, v3
	v_add_co_ci_u32_e64 v4, s0, s5, v4, s0
	.p2align	6
.LBB0_2:                                ; =>This Inner Loop Header: Depth=1
	global_load_b32 v8, v[1:2], off
	global_load_b32 v9, v[3:4], off
	v_add_nc_u32_e32 v7, 32, v7
	v_add_co_u32 v1, s0, 0x80, v1
	s_delay_alu instid0(VALU_DEP_1) | instskip(SKIP_1) | instid1(VALU_DEP_1)
	v_add_co_ci_u32_e64 v2, s0, 0, v2, s0
	v_add_co_u32 v3, s0, 0x80, v3
	v_add_co_ci_u32_e64 v4, s0, 0, v4, s0
	s_waitcnt vmcnt(0)
	v_fmac_f32_e32 v6, v8, v9
	v_cmp_le_i32_e64 s1, s10, v7
	s_delay_alu instid0(VALU_DEP_1) | instskip(NEXT) | instid1(SALU_CYCLE_1)
	s_or_b32 s13, s1, s13
	s_and_not1_b32 exec_lo, exec_lo, s13
	s_cbranch_execnz .LBB0_2
; %bb.3:
	s_or_b32 exec_lo, exec_lo, s13
.LBB0_4:
	s_delay_alu instid0(SALU_CYCLE_1) | instskip(SKIP_2) | instid1(VALU_DEP_1)
	s_or_b32 exec_lo, exec_lo, s12
	v_mbcnt_lo_u32_b32 v1, -1, 0
	s_mov_b32 s1, 0
	v_xor_b32_e32 v2, 16, v1
	v_xor_b32_e32 v3, 8, v1
	;; [unrolled: 1-line block ×3, first 2 shown]
	s_delay_alu instid0(VALU_DEP_3) | instskip(NEXT) | instid1(VALU_DEP_1)
	v_cmp_gt_i32_e64 s0, 32, v2
	v_cndmask_b32_e64 v2, v1, v2, s0
	s_delay_alu instid0(VALU_DEP_4) | instskip(NEXT) | instid1(VALU_DEP_2)
	v_cmp_gt_i32_e64 s0, 32, v3
	v_lshlrev_b32_e32 v2, 2, v2
	s_delay_alu instid0(VALU_DEP_2) | instskip(SKIP_4) | instid1(VALU_DEP_1)
	v_cndmask_b32_e64 v3, v1, v3, s0
	v_cmp_gt_i32_e64 s0, 32, v4
	ds_bpermute_b32 v2, v2, v6
	v_lshlrev_b32_e32 v3, 2, v3
	v_cndmask_b32_e64 v4, v1, v4, s0
	v_lshlrev_b32_e32 v4, 2, v4
	s_waitcnt lgkmcnt(0)
	v_add_f32_e32 v2, v6, v2
	ds_bpermute_b32 v3, v3, v2
	s_waitcnt lgkmcnt(0)
	v_add_f32_e32 v2, v2, v3
	ds_bpermute_b32 v3, v4, v2
	v_xor_b32_e32 v4, 2, v1
	s_delay_alu instid0(VALU_DEP_1) | instskip(NEXT) | instid1(VALU_DEP_1)
	v_cmp_gt_i32_e64 s0, 32, v4
	v_cndmask_b32_e64 v4, v1, v4, s0
	s_delay_alu instid0(VALU_DEP_1) | instskip(SKIP_4) | instid1(VALU_DEP_1)
	v_lshlrev_b32_e32 v4, 2, v4
	s_waitcnt lgkmcnt(0)
	v_add_f32_e32 v2, v2, v3
	ds_bpermute_b32 v3, v4, v2
	v_xor_b32_e32 v4, 1, v1
	v_cmp_gt_i32_e64 s0, 32, v4
	s_delay_alu instid0(VALU_DEP_1) | instskip(SKIP_1) | instid1(VALU_DEP_1)
	v_cndmask_b32_e64 v4, v1, v4, s0
	s_waitcnt lgkmcnt(0)
	v_dual_add_f32 v1, v2, v3 :: v_dual_lshlrev_b32 v2, 2, v4
	ds_bpermute_b32 v2, v2, v1
	s_and_saveexec_b32 s0, vcc_lo
	s_cbranch_execz .LBB0_7
; %bb.5:
	s_lshl_b64 s[2:3], s[2:3], 2
	s_waitcnt lgkmcnt(0)
	v_add_f32_e32 v7, v1, v2
	v_add_co_u32 v5, s0, s2, v5
	s_delay_alu instid0(VALU_DEP_1) | instskip(NEXT) | instid1(VALU_DEP_2)
	v_add_co_ci_u32_e64 v6, null, s3, 0, s0
	v_add_co_u32 v1, vcc_lo, s4, v5
	s_delay_alu instid0(VALU_DEP_2)
	v_add_co_ci_u32_e32 v2, vcc_lo, s5, v6, vcc_lo
	v_add_co_u32 v3, vcc_lo, s6, v5
	v_add_co_ci_u32_e32 v4, vcc_lo, s7, v6, vcc_lo
	v_add_co_u32 v5, vcc_lo, s8, v5
	v_add_co_ci_u32_e32 v6, vcc_lo, s9, v6, vcc_lo
	.p2align	6
.LBB0_6:                                ; =>This Inner Loop Header: Depth=1
	global_load_b32 v8, v[1:2], off
	global_load_b32 v9, v[3:4], off
	v_add_co_u32 v1, vcc_lo, 0x80, v1
	v_add_nc_u32_e32 v0, 32, v0
	v_add_co_ci_u32_e32 v2, vcc_lo, 0, v2, vcc_lo
	v_add_co_u32 v3, vcc_lo, 0x80, v3
	v_add_co_ci_u32_e32 v4, vcc_lo, 0, v4, vcc_lo
	s_delay_alu instid0(VALU_DEP_4) | instskip(SKIP_3) | instid1(VALU_DEP_1)
	v_cmp_le_i32_e32 vcc_lo, s10, v0
	s_or_b32 s1, vcc_lo, s1
	s_waitcnt vmcnt(1)
	v_sub_f32_e32 v8, v8, v7
	v_mul_f32_e32 v8, s11, v8
	s_waitcnt vmcnt(0)
	s_delay_alu instid0(VALU_DEP_1) | instskip(SKIP_2) | instid1(VALU_DEP_1)
	v_mul_f32_e32 v8, v9, v8
	global_store_b32 v[5:6], v8, off
	v_add_co_u32 v5, s0, 0x80, v5
	v_add_co_ci_u32_e64 v6, s0, 0, v6, s0
	s_and_not1_b32 exec_lo, exec_lo, s1
	s_cbranch_execnz .LBB0_6
.LBB0_7:
	s_nop 0
	s_sendmsg sendmsg(MSG_DEALLOC_VGPRS)
	s_endpgm
	.section	.rodata,"a",@progbits
	.p2align	6, 0x0
	.amdhsa_kernel _ZL17soft_max_back_f32PKfS0_Pfif
		.amdhsa_group_segment_fixed_size 0
		.amdhsa_private_segment_fixed_size 0
		.amdhsa_kernarg_size 32
		.amdhsa_user_sgpr_count 15
		.amdhsa_user_sgpr_dispatch_ptr 0
		.amdhsa_user_sgpr_queue_ptr 0
		.amdhsa_user_sgpr_kernarg_segment_ptr 1
		.amdhsa_user_sgpr_dispatch_id 0
		.amdhsa_user_sgpr_private_segment_size 0
		.amdhsa_wavefront_size32 1
		.amdhsa_uses_dynamic_stack 0
		.amdhsa_enable_private_segment 0
		.amdhsa_system_sgpr_workgroup_id_x 1
		.amdhsa_system_sgpr_workgroup_id_y 0
		.amdhsa_system_sgpr_workgroup_id_z 0
		.amdhsa_system_sgpr_workgroup_info 0
		.amdhsa_system_vgpr_workitem_id 0
		.amdhsa_next_free_vgpr 10
		.amdhsa_next_free_sgpr 16
		.amdhsa_reserve_vcc 1
		.amdhsa_float_round_mode_32 0
		.amdhsa_float_round_mode_16_64 0
		.amdhsa_float_denorm_mode_32 3
		.amdhsa_float_denorm_mode_16_64 3
		.amdhsa_dx10_clamp 1
		.amdhsa_ieee_mode 1
		.amdhsa_fp16_overflow 0
		.amdhsa_workgroup_processor_mode 1
		.amdhsa_memory_ordered 1
		.amdhsa_forward_progress 0
		.amdhsa_shared_vgpr_count 0
		.amdhsa_exception_fp_ieee_invalid_op 0
		.amdhsa_exception_fp_denorm_src 0
		.amdhsa_exception_fp_ieee_div_zero 0
		.amdhsa_exception_fp_ieee_overflow 0
		.amdhsa_exception_fp_ieee_underflow 0
		.amdhsa_exception_fp_ieee_inexact 0
		.amdhsa_exception_int_div_zero 0
	.end_amdhsa_kernel
	.section	.text._ZL17soft_max_back_f32PKfS0_Pfif,"axG",@progbits,_ZL17soft_max_back_f32PKfS0_Pfif,comdat
.Lfunc_end0:
	.size	_ZL17soft_max_back_f32PKfS0_Pfif, .Lfunc_end0-_ZL17soft_max_back_f32PKfS0_Pfif
                                        ; -- End function
	.section	.AMDGPU.csdata,"",@progbits
; Kernel info:
; codeLenInByte = 664
; NumSgprs: 18
; NumVgprs: 10
; ScratchSize: 0
; MemoryBound: 0
; FloatMode: 240
; IeeeMode: 1
; LDSByteSize: 0 bytes/workgroup (compile time only)
; SGPRBlocks: 2
; VGPRBlocks: 1
; NumSGPRsForWavesPerEU: 18
; NumVGPRsForWavesPerEU: 10
; Occupancy: 16
; WaveLimiterHint : 0
; COMPUTE_PGM_RSRC2:SCRATCH_EN: 0
; COMPUTE_PGM_RSRC2:USER_SGPR: 15
; COMPUTE_PGM_RSRC2:TRAP_HANDLER: 0
; COMPUTE_PGM_RSRC2:TGID_X_EN: 1
; COMPUTE_PGM_RSRC2:TGID_Y_EN: 0
; COMPUTE_PGM_RSRC2:TGID_Z_EN: 0
; COMPUTE_PGM_RSRC2:TIDIG_COMP_CNT: 0
	.text
	.p2align	2                               ; -- Begin function __ockl_fprintf_append_string_n
	.type	__ockl_fprintf_append_string_n,@function
__ockl_fprintf_append_string_n:         ; @__ockl_fprintf_append_string_n
; %bb.0:
	s_waitcnt vmcnt(0) expcnt(0) lgkmcnt(0)
	v_dual_mov_b32 v8, v3 :: v_dual_mov_b32 v7, v2
	v_or_b32_e32 v2, 2, v0
	v_cmp_eq_u32_e32 vcc_lo, 0, v6
	v_mbcnt_lo_u32_b32 v33, -1, 0
	s_mov_b32 s11, 0
	s_mov_b32 s0, exec_lo
	v_cndmask_b32_e32 v0, v2, v0, vcc_lo
	v_cmpx_ne_u64_e32 0, v[7:8]
	s_xor_b32 s10, exec_lo, s0
	s_cbranch_execz .LBB1_86
; %bb.1:
	s_load_b64 s[2:3], s[8:9], 0x50
	v_dual_mov_b32 v11, 2 :: v_dual_and_b32 v6, 2, v0
	v_mov_b32_e32 v10, 0
	v_and_b32_e32 v0, -3, v0
	v_mov_b32_e32 v12, 1
	s_mov_b32 s12, 0
	s_branch .LBB1_3
.LBB1_2:                                ;   in Loop: Header=BB1_3 Depth=1
	s_or_b32 exec_lo, exec_lo, s1
	v_sub_co_u32 v4, vcc_lo, v4, v29
	v_sub_co_ci_u32_e32 v5, vcc_lo, v5, v30, vcc_lo
	v_add_co_u32 v7, s0, v7, v29
	s_delay_alu instid0(VALU_DEP_1) | instskip(NEXT) | instid1(VALU_DEP_3)
	v_add_co_ci_u32_e64 v8, s0, v8, v30, s0
	v_cmp_eq_u64_e32 vcc_lo, 0, v[4:5]
	s_or_b32 s12, vcc_lo, s12
	s_delay_alu instid0(SALU_CYCLE_1)
	s_and_not1_b32 exec_lo, exec_lo, s12
	s_cbranch_execz .LBB1_85
.LBB1_3:                                ; =>This Loop Header: Depth=1
                                        ;     Child Loop BB1_6 Depth 2
                                        ;     Child Loop BB1_14 Depth 2
	;; [unrolled: 1-line block ×11, first 2 shown]
	v_cmp_gt_u64_e32 vcc_lo, 56, v[4:5]
	s_mov_b32 s1, exec_lo
                                        ; implicit-def: $vgpr2_vgpr3
                                        ; implicit-def: $sgpr4
	v_dual_cndmask_b32 v30, 0, v5 :: v_dual_cndmask_b32 v29, 56, v4
	v_cmpx_gt_u64_e32 8, v[4:5]
	s_xor_b32 s1, exec_lo, s1
	s_cbranch_execz .LBB1_9
; %bb.4:                                ;   in Loop: Header=BB1_3 Depth=1
	s_waitcnt vmcnt(0)
	v_mov_b32_e32 v2, 0
	v_mov_b32_e32 v3, 0
	s_mov_b64 s[4:5], 0
	s_mov_b32 s6, exec_lo
	v_cmpx_ne_u64_e32 0, v[4:5]
	s_cbranch_execz .LBB1_8
; %bb.5:                                ;   in Loop: Header=BB1_3 Depth=1
	v_lshlrev_b64 v[13:14], 3, v[29:30]
	v_dual_mov_b32 v2, 0 :: v_dual_mov_b32 v15, v8
	v_dual_mov_b32 v3, 0 :: v_dual_mov_b32 v14, v7
	s_mov_b32 s7, 0
	.p2align	6
.LBB1_6:                                ;   Parent Loop BB1_3 Depth=1
                                        ; =>  This Inner Loop Header: Depth=2
	flat_load_u8 v9, v[14:15]
	v_mov_b32_e32 v17, s11
	v_add_co_u32 v14, vcc_lo, v14, 1
	v_add_co_ci_u32_e32 v15, vcc_lo, 0, v15, vcc_lo
	s_waitcnt vmcnt(0) lgkmcnt(0)
	v_and_b32_e32 v16, 0xffff, v9
	s_delay_alu instid0(VALU_DEP_1) | instskip(SKIP_3) | instid1(VALU_DEP_2)
	v_lshlrev_b64 v[16:17], s4, v[16:17]
	s_add_u32 s4, s4, 8
	s_addc_u32 s5, s5, 0
	v_cmp_eq_u32_e64 s0, s4, v13
	v_or_b32_e32 v3, v17, v3
	s_delay_alu instid0(VALU_DEP_3) | instskip(NEXT) | instid1(VALU_DEP_3)
	v_or_b32_e32 v2, v16, v2
	s_or_b32 s7, s0, s7
	s_delay_alu instid0(SALU_CYCLE_1)
	s_and_not1_b32 exec_lo, exec_lo, s7
	s_cbranch_execnz .LBB1_6
; %bb.7:                                ;   in Loop: Header=BB1_3 Depth=1
	s_or_b32 exec_lo, exec_lo, s7
.LBB1_8:                                ;   in Loop: Header=BB1_3 Depth=1
	s_delay_alu instid0(SALU_CYCLE_1)
	s_or_b32 exec_lo, exec_lo, s6
	s_mov_b32 s4, 0
.LBB1_9:                                ;   in Loop: Header=BB1_3 Depth=1
	s_or_saveexec_b32 s0, s1
	v_dual_mov_b32 v9, s4 :: v_dual_mov_b32 v26, v8
	v_mov_b32_e32 v25, v7
	s_xor_b32 exec_lo, exec_lo, s0
	s_cbranch_execz .LBB1_11
; %bb.10:                               ;   in Loop: Header=BB1_3 Depth=1
	s_waitcnt vmcnt(0)
	flat_load_b64 v[2:3], v[7:8]
	v_add_co_u32 v25, vcc_lo, v7, 8
	v_add_co_ci_u32_e32 v26, vcc_lo, 0, v8, vcc_lo
	s_waitcnt vmcnt(0) lgkmcnt(0)
	v_and_b32_e32 v9, 0xff, v3
	v_and_b32_e32 v13, 0xff00, v3
	;; [unrolled: 1-line block ×4, first 2 shown]
	v_or3_b32 v2, v2, 0, 0
	s_delay_alu instid0(VALU_DEP_4) | instskip(SKIP_1) | instid1(VALU_DEP_2)
	v_or_b32_e32 v13, v9, v13
	v_add_nc_u32_e32 v9, -8, v29
	v_or3_b32 v3, v13, v14, v3
.LBB1_11:                               ;   in Loop: Header=BB1_3 Depth=1
	s_or_b32 exec_lo, exec_lo, s0
                                        ; implicit-def: $vgpr13_vgpr14
                                        ; implicit-def: $sgpr1
	s_delay_alu instid0(SALU_CYCLE_1) | instskip(NEXT) | instid1(VALU_DEP_2)
	s_mov_b32 s0, exec_lo
	v_cmpx_gt_u32_e32 8, v9
	s_xor_b32 s6, exec_lo, s0
	s_cbranch_execz .LBB1_17
; %bb.12:                               ;   in Loop: Header=BB1_3 Depth=1
	v_mov_b32_e32 v13, 0
	v_mov_b32_e32 v14, 0
	s_mov_b32 s7, exec_lo
	v_cmpx_ne_u32_e32 0, v9
	s_cbranch_execz .LBB1_16
; %bb.13:                               ;   in Loop: Header=BB1_3 Depth=1
	v_mov_b32_e32 v13, 0
	v_mov_b32_e32 v14, 0
	s_mov_b64 s[0:1], 0
	s_mov_b32 s13, 0
	s_mov_b64 s[4:5], 0
	.p2align	6
.LBB1_14:                               ;   Parent Loop BB1_3 Depth=1
                                        ; =>  This Inner Loop Header: Depth=2
	s_delay_alu instid0(SALU_CYCLE_1)
	v_add_co_u32 v15, vcc_lo, v25, s4
	v_add_co_ci_u32_e32 v16, vcc_lo, s5, v26, vcc_lo
	s_add_u32 s4, s4, 1
	s_addc_u32 s5, s5, 0
	v_cmp_eq_u32_e32 vcc_lo, s4, v9
	flat_load_u8 v15, v[15:16]
	s_waitcnt vmcnt(0) lgkmcnt(0)
	v_dual_mov_b32 v16, s11 :: v_dual_and_b32 v15, 0xffff, v15
	s_delay_alu instid0(VALU_DEP_1) | instskip(SKIP_3) | instid1(VALU_DEP_1)
	v_lshlrev_b64 v[15:16], s0, v[15:16]
	s_add_u32 s0, s0, 8
	s_addc_u32 s1, s1, 0
	s_or_b32 s13, vcc_lo, s13
	v_or_b32_e32 v14, v16, v14
	s_delay_alu instid0(VALU_DEP_2)
	v_or_b32_e32 v13, v15, v13
	s_and_not1_b32 exec_lo, exec_lo, s13
	s_cbranch_execnz .LBB1_14
; %bb.15:                               ;   in Loop: Header=BB1_3 Depth=1
	s_or_b32 exec_lo, exec_lo, s13
.LBB1_16:                               ;   in Loop: Header=BB1_3 Depth=1
	s_delay_alu instid0(SALU_CYCLE_1)
	s_or_b32 exec_lo, exec_lo, s7
	s_mov_b32 s1, 0
                                        ; implicit-def: $vgpr9
.LBB1_17:                               ;   in Loop: Header=BB1_3 Depth=1
	s_or_saveexec_b32 s0, s6
	v_mov_b32_e32 v17, s1
	s_xor_b32 exec_lo, exec_lo, s0
	s_cbranch_execz .LBB1_19
; %bb.18:                               ;   in Loop: Header=BB1_3 Depth=1
	flat_load_b64 v[13:14], v[25:26]
	v_add_co_u32 v25, vcc_lo, v25, 8
	v_add_nc_u32_e32 v17, -8, v9
	v_add_co_ci_u32_e32 v26, vcc_lo, 0, v26, vcc_lo
	s_waitcnt vmcnt(0) lgkmcnt(0)
	v_and_b32_e32 v15, 0xff, v14
	v_and_b32_e32 v16, 0xff00, v14
	;; [unrolled: 1-line block ×4, first 2 shown]
	v_or3_b32 v13, v13, 0, 0
	s_delay_alu instid0(VALU_DEP_4) | instskip(NEXT) | instid1(VALU_DEP_1)
	v_or_b32_e32 v15, v15, v16
	v_or3_b32 v14, v15, v18, v14
.LBB1_19:                               ;   in Loop: Header=BB1_3 Depth=1
	s_or_b32 exec_lo, exec_lo, s0
                                        ; implicit-def: $sgpr1
	s_delay_alu instid0(SALU_CYCLE_1)
	s_mov_b32 s0, exec_lo
	v_cmpx_gt_u32_e32 8, v17
	s_xor_b32 s6, exec_lo, s0
	s_cbranch_execz .LBB1_25
; %bb.20:                               ;   in Loop: Header=BB1_3 Depth=1
	v_mov_b32_e32 v15, 0
	v_mov_b32_e32 v16, 0
	s_mov_b32 s7, exec_lo
	v_cmpx_ne_u32_e32 0, v17
	s_cbranch_execz .LBB1_24
; %bb.21:                               ;   in Loop: Header=BB1_3 Depth=1
	v_mov_b32_e32 v15, 0
	v_mov_b32_e32 v16, 0
	s_mov_b64 s[0:1], 0
	s_mov_b32 s13, 0
	s_mov_b64 s[4:5], 0
	.p2align	6
.LBB1_22:                               ;   Parent Loop BB1_3 Depth=1
                                        ; =>  This Inner Loop Header: Depth=2
	s_delay_alu instid0(SALU_CYCLE_1)
	v_add_co_u32 v18, vcc_lo, v25, s4
	v_add_co_ci_u32_e32 v19, vcc_lo, s5, v26, vcc_lo
	s_add_u32 s4, s4, 1
	s_addc_u32 s5, s5, 0
	v_cmp_eq_u32_e32 vcc_lo, s4, v17
	flat_load_u8 v9, v[18:19]
	s_waitcnt vmcnt(0) lgkmcnt(0)
	v_dual_mov_b32 v19, s11 :: v_dual_and_b32 v18, 0xffff, v9
	s_delay_alu instid0(VALU_DEP_1) | instskip(SKIP_3) | instid1(VALU_DEP_1)
	v_lshlrev_b64 v[18:19], s0, v[18:19]
	s_add_u32 s0, s0, 8
	s_addc_u32 s1, s1, 0
	s_or_b32 s13, vcc_lo, s13
	v_or_b32_e32 v16, v19, v16
	s_delay_alu instid0(VALU_DEP_2)
	v_or_b32_e32 v15, v18, v15
	s_and_not1_b32 exec_lo, exec_lo, s13
	s_cbranch_execnz .LBB1_22
; %bb.23:                               ;   in Loop: Header=BB1_3 Depth=1
	s_or_b32 exec_lo, exec_lo, s13
.LBB1_24:                               ;   in Loop: Header=BB1_3 Depth=1
	s_delay_alu instid0(SALU_CYCLE_1)
	s_or_b32 exec_lo, exec_lo, s7
	s_mov_b32 s1, 0
                                        ; implicit-def: $vgpr17
.LBB1_25:                               ;   in Loop: Header=BB1_3 Depth=1
	s_or_saveexec_b32 s0, s6
	v_mov_b32_e32 v9, s1
	s_xor_b32 exec_lo, exec_lo, s0
	s_cbranch_execz .LBB1_27
; %bb.26:                               ;   in Loop: Header=BB1_3 Depth=1
	flat_load_b64 v[15:16], v[25:26]
	v_add_co_u32 v25, vcc_lo, v25, 8
	v_add_co_ci_u32_e32 v26, vcc_lo, 0, v26, vcc_lo
	s_waitcnt vmcnt(0) lgkmcnt(0)
	v_and_b32_e32 v9, 0xff, v16
	v_and_b32_e32 v18, 0xff00, v16
	v_and_b32_e32 v19, 0xff0000, v16
	v_and_b32_e32 v16, 0xff000000, v16
	v_or3_b32 v15, v15, 0, 0
	s_delay_alu instid0(VALU_DEP_4) | instskip(SKIP_1) | instid1(VALU_DEP_2)
	v_or_b32_e32 v18, v9, v18
	v_add_nc_u32_e32 v9, -8, v17
	v_or3_b32 v16, v18, v19, v16
.LBB1_27:                               ;   in Loop: Header=BB1_3 Depth=1
	s_or_b32 exec_lo, exec_lo, s0
                                        ; implicit-def: $vgpr17_vgpr18
                                        ; implicit-def: $sgpr1
	s_delay_alu instid0(SALU_CYCLE_1) | instskip(NEXT) | instid1(VALU_DEP_1)
	s_mov_b32 s0, exec_lo
	v_cmpx_gt_u32_e32 8, v9
	s_xor_b32 s6, exec_lo, s0
	s_cbranch_execz .LBB1_33
; %bb.28:                               ;   in Loop: Header=BB1_3 Depth=1
	v_mov_b32_e32 v17, 0
	v_mov_b32_e32 v18, 0
	s_mov_b32 s7, exec_lo
	v_cmpx_ne_u32_e32 0, v9
	s_cbranch_execz .LBB1_32
; %bb.29:                               ;   in Loop: Header=BB1_3 Depth=1
	v_mov_b32_e32 v17, 0
	v_mov_b32_e32 v18, 0
	s_mov_b64 s[0:1], 0
	s_mov_b32 s13, 0
	s_mov_b64 s[4:5], 0
	.p2align	6
.LBB1_30:                               ;   Parent Loop BB1_3 Depth=1
                                        ; =>  This Inner Loop Header: Depth=2
	s_delay_alu instid0(SALU_CYCLE_1)
	v_add_co_u32 v19, vcc_lo, v25, s4
	v_add_co_ci_u32_e32 v20, vcc_lo, s5, v26, vcc_lo
	s_add_u32 s4, s4, 1
	s_addc_u32 s5, s5, 0
	v_cmp_eq_u32_e32 vcc_lo, s4, v9
	flat_load_u8 v19, v[19:20]
	s_waitcnt vmcnt(0) lgkmcnt(0)
	v_dual_mov_b32 v20, s11 :: v_dual_and_b32 v19, 0xffff, v19
	s_delay_alu instid0(VALU_DEP_1) | instskip(SKIP_3) | instid1(VALU_DEP_1)
	v_lshlrev_b64 v[19:20], s0, v[19:20]
	s_add_u32 s0, s0, 8
	s_addc_u32 s1, s1, 0
	s_or_b32 s13, vcc_lo, s13
	v_or_b32_e32 v18, v20, v18
	s_delay_alu instid0(VALU_DEP_2)
	v_or_b32_e32 v17, v19, v17
	s_and_not1_b32 exec_lo, exec_lo, s13
	s_cbranch_execnz .LBB1_30
; %bb.31:                               ;   in Loop: Header=BB1_3 Depth=1
	s_or_b32 exec_lo, exec_lo, s13
.LBB1_32:                               ;   in Loop: Header=BB1_3 Depth=1
	s_delay_alu instid0(SALU_CYCLE_1)
	s_or_b32 exec_lo, exec_lo, s7
	s_mov_b32 s1, 0
                                        ; implicit-def: $vgpr9
.LBB1_33:                               ;   in Loop: Header=BB1_3 Depth=1
	s_or_saveexec_b32 s0, s6
	v_mov_b32_e32 v21, s1
	s_xor_b32 exec_lo, exec_lo, s0
	s_cbranch_execz .LBB1_35
; %bb.34:                               ;   in Loop: Header=BB1_3 Depth=1
	flat_load_b64 v[17:18], v[25:26]
	v_add_co_u32 v25, vcc_lo, v25, 8
	v_add_nc_u32_e32 v21, -8, v9
	v_add_co_ci_u32_e32 v26, vcc_lo, 0, v26, vcc_lo
	s_waitcnt vmcnt(0) lgkmcnt(0)
	v_and_b32_e32 v19, 0xff, v18
	v_and_b32_e32 v20, 0xff00, v18
	;; [unrolled: 1-line block ×4, first 2 shown]
	v_or3_b32 v17, v17, 0, 0
	s_delay_alu instid0(VALU_DEP_4) | instskip(NEXT) | instid1(VALU_DEP_1)
	v_or_b32_e32 v19, v19, v20
	v_or3_b32 v18, v19, v22, v18
.LBB1_35:                               ;   in Loop: Header=BB1_3 Depth=1
	s_or_b32 exec_lo, exec_lo, s0
                                        ; implicit-def: $sgpr1
	s_delay_alu instid0(SALU_CYCLE_1)
	s_mov_b32 s0, exec_lo
	v_cmpx_gt_u32_e32 8, v21
	s_xor_b32 s6, exec_lo, s0
	s_cbranch_execz .LBB1_41
; %bb.36:                               ;   in Loop: Header=BB1_3 Depth=1
	v_mov_b32_e32 v19, 0
	v_mov_b32_e32 v20, 0
	s_mov_b32 s7, exec_lo
	v_cmpx_ne_u32_e32 0, v21
	s_cbranch_execz .LBB1_40
; %bb.37:                               ;   in Loop: Header=BB1_3 Depth=1
	v_mov_b32_e32 v19, 0
	v_mov_b32_e32 v20, 0
	s_mov_b64 s[0:1], 0
	s_mov_b32 s13, 0
	s_mov_b64 s[4:5], 0
	.p2align	6
.LBB1_38:                               ;   Parent Loop BB1_3 Depth=1
                                        ; =>  This Inner Loop Header: Depth=2
	s_delay_alu instid0(SALU_CYCLE_1)
	v_add_co_u32 v22, vcc_lo, v25, s4
	v_add_co_ci_u32_e32 v23, vcc_lo, s5, v26, vcc_lo
	s_add_u32 s4, s4, 1
	s_addc_u32 s5, s5, 0
	v_cmp_eq_u32_e32 vcc_lo, s4, v21
	flat_load_u8 v9, v[22:23]
	s_waitcnt vmcnt(0) lgkmcnt(0)
	v_dual_mov_b32 v23, s11 :: v_dual_and_b32 v22, 0xffff, v9
	s_delay_alu instid0(VALU_DEP_1) | instskip(SKIP_3) | instid1(VALU_DEP_1)
	v_lshlrev_b64 v[22:23], s0, v[22:23]
	s_add_u32 s0, s0, 8
	s_addc_u32 s1, s1, 0
	s_or_b32 s13, vcc_lo, s13
	v_or_b32_e32 v20, v23, v20
	s_delay_alu instid0(VALU_DEP_2)
	v_or_b32_e32 v19, v22, v19
	s_and_not1_b32 exec_lo, exec_lo, s13
	s_cbranch_execnz .LBB1_38
; %bb.39:                               ;   in Loop: Header=BB1_3 Depth=1
	s_or_b32 exec_lo, exec_lo, s13
.LBB1_40:                               ;   in Loop: Header=BB1_3 Depth=1
	s_delay_alu instid0(SALU_CYCLE_1)
	s_or_b32 exec_lo, exec_lo, s7
	s_mov_b32 s1, 0
                                        ; implicit-def: $vgpr21
.LBB1_41:                               ;   in Loop: Header=BB1_3 Depth=1
	s_or_saveexec_b32 s0, s6
	v_mov_b32_e32 v9, s1
	s_xor_b32 exec_lo, exec_lo, s0
	s_cbranch_execz .LBB1_43
; %bb.42:                               ;   in Loop: Header=BB1_3 Depth=1
	flat_load_b64 v[19:20], v[25:26]
	v_add_co_u32 v25, vcc_lo, v25, 8
	v_add_co_ci_u32_e32 v26, vcc_lo, 0, v26, vcc_lo
	s_waitcnt vmcnt(0) lgkmcnt(0)
	v_and_b32_e32 v9, 0xff, v20
	v_and_b32_e32 v22, 0xff00, v20
	;; [unrolled: 1-line block ×4, first 2 shown]
	v_or3_b32 v19, v19, 0, 0
	s_delay_alu instid0(VALU_DEP_4) | instskip(SKIP_1) | instid1(VALU_DEP_2)
	v_or_b32_e32 v22, v9, v22
	v_add_nc_u32_e32 v9, -8, v21
	v_or3_b32 v20, v22, v23, v20
.LBB1_43:                               ;   in Loop: Header=BB1_3 Depth=1
	s_or_b32 exec_lo, exec_lo, s0
                                        ; implicit-def: $vgpr21_vgpr22
                                        ; implicit-def: $sgpr1
	s_delay_alu instid0(SALU_CYCLE_1) | instskip(NEXT) | instid1(VALU_DEP_1)
	s_mov_b32 s0, exec_lo
	v_cmpx_gt_u32_e32 8, v9
	s_xor_b32 s6, exec_lo, s0
	s_cbranch_execz .LBB1_49
; %bb.44:                               ;   in Loop: Header=BB1_3 Depth=1
	v_mov_b32_e32 v21, 0
	v_mov_b32_e32 v22, 0
	s_mov_b32 s7, exec_lo
	v_cmpx_ne_u32_e32 0, v9
	s_cbranch_execz .LBB1_48
; %bb.45:                               ;   in Loop: Header=BB1_3 Depth=1
	v_mov_b32_e32 v21, 0
	v_mov_b32_e32 v22, 0
	s_mov_b64 s[0:1], 0
	s_mov_b32 s13, 0
	s_mov_b64 s[4:5], 0
	.p2align	6
.LBB1_46:                               ;   Parent Loop BB1_3 Depth=1
                                        ; =>  This Inner Loop Header: Depth=2
	s_delay_alu instid0(SALU_CYCLE_1)
	v_add_co_u32 v23, vcc_lo, v25, s4
	v_add_co_ci_u32_e32 v24, vcc_lo, s5, v26, vcc_lo
	s_add_u32 s4, s4, 1
	s_addc_u32 s5, s5, 0
	v_cmp_eq_u32_e32 vcc_lo, s4, v9
	flat_load_u8 v23, v[23:24]
	s_waitcnt vmcnt(0) lgkmcnt(0)
	v_dual_mov_b32 v24, s11 :: v_dual_and_b32 v23, 0xffff, v23
	s_delay_alu instid0(VALU_DEP_1) | instskip(SKIP_3) | instid1(VALU_DEP_1)
	v_lshlrev_b64 v[23:24], s0, v[23:24]
	s_add_u32 s0, s0, 8
	s_addc_u32 s1, s1, 0
	s_or_b32 s13, vcc_lo, s13
	v_or_b32_e32 v22, v24, v22
	s_delay_alu instid0(VALU_DEP_2)
	v_or_b32_e32 v21, v23, v21
	s_and_not1_b32 exec_lo, exec_lo, s13
	s_cbranch_execnz .LBB1_46
; %bb.47:                               ;   in Loop: Header=BB1_3 Depth=1
	s_or_b32 exec_lo, exec_lo, s13
.LBB1_48:                               ;   in Loop: Header=BB1_3 Depth=1
	s_delay_alu instid0(SALU_CYCLE_1)
	s_or_b32 exec_lo, exec_lo, s7
	s_mov_b32 s1, 0
                                        ; implicit-def: $vgpr9
.LBB1_49:                               ;   in Loop: Header=BB1_3 Depth=1
	s_or_saveexec_b32 s0, s6
	v_mov_b32_e32 v27, s1
	s_xor_b32 exec_lo, exec_lo, s0
	s_cbranch_execz .LBB1_51
; %bb.50:                               ;   in Loop: Header=BB1_3 Depth=1
	flat_load_b64 v[21:22], v[25:26]
	v_add_co_u32 v25, vcc_lo, v25, 8
	v_add_nc_u32_e32 v27, -8, v9
	v_add_co_ci_u32_e32 v26, vcc_lo, 0, v26, vcc_lo
	s_waitcnt vmcnt(0) lgkmcnt(0)
	v_and_b32_e32 v23, 0xff, v22
	v_and_b32_e32 v24, 0xff00, v22
	;; [unrolled: 1-line block ×4, first 2 shown]
	v_or3_b32 v21, v21, 0, 0
	s_delay_alu instid0(VALU_DEP_4) | instskip(NEXT) | instid1(VALU_DEP_1)
	v_or_b32_e32 v23, v23, v24
	v_or3_b32 v22, v23, v28, v22
.LBB1_51:                               ;   in Loop: Header=BB1_3 Depth=1
	s_or_b32 exec_lo, exec_lo, s0
	s_delay_alu instid0(SALU_CYCLE_1)
	s_mov_b32 s0, exec_lo
	v_cmpx_gt_u32_e32 8, v27
	s_xor_b32 s4, exec_lo, s0
	s_cbranch_execz .LBB1_57
; %bb.52:                               ;   in Loop: Header=BB1_3 Depth=1
	v_mov_b32_e32 v23, 0
	v_mov_b32_e32 v24, 0
	s_mov_b32 s5, exec_lo
	v_cmpx_ne_u32_e32 0, v27
	s_cbranch_execz .LBB1_56
; %bb.53:                               ;   in Loop: Header=BB1_3 Depth=1
	v_mov_b32_e32 v23, 0
	v_mov_b32_e32 v24, 0
	s_mov_b64 s[0:1], 0
	s_mov_b32 s6, 0
	.p2align	6
.LBB1_54:                               ;   Parent Loop BB1_3 Depth=1
                                        ; =>  This Inner Loop Header: Depth=2
	flat_load_u8 v9, v[25:26]
	v_dual_mov_b32 v32, s11 :: v_dual_add_nc_u32 v27, -1, v27
	v_add_co_u32 v25, vcc_lo, v25, 1
	v_add_co_ci_u32_e32 v26, vcc_lo, 0, v26, vcc_lo
	s_delay_alu instid0(VALU_DEP_3) | instskip(SKIP_2) | instid1(VALU_DEP_1)
	v_cmp_eq_u32_e32 vcc_lo, 0, v27
	s_waitcnt vmcnt(0) lgkmcnt(0)
	v_and_b32_e32 v31, 0xffff, v9
	v_lshlrev_b64 v[31:32], s0, v[31:32]
	s_add_u32 s0, s0, 8
	s_addc_u32 s1, s1, 0
	s_or_b32 s6, vcc_lo, s6
	s_delay_alu instid0(VALU_DEP_1) | instskip(NEXT) | instid1(VALU_DEP_2)
	v_or_b32_e32 v24, v32, v24
	v_or_b32_e32 v23, v31, v23
	s_and_not1_b32 exec_lo, exec_lo, s6
	s_cbranch_execnz .LBB1_54
; %bb.55:                               ;   in Loop: Header=BB1_3 Depth=1
	s_or_b32 exec_lo, exec_lo, s6
.LBB1_56:                               ;   in Loop: Header=BB1_3 Depth=1
	s_delay_alu instid0(SALU_CYCLE_1)
	s_or_b32 exec_lo, exec_lo, s5
                                        ; implicit-def: $vgpr25_vgpr26
.LBB1_57:                               ;   in Loop: Header=BB1_3 Depth=1
	s_and_not1_saveexec_b32 s0, s4
	s_cbranch_execz .LBB1_59
; %bb.58:                               ;   in Loop: Header=BB1_3 Depth=1
	flat_load_b64 v[23:24], v[25:26]
	s_waitcnt vmcnt(0) lgkmcnt(0)
	v_and_b32_e32 v9, 0xff, v24
	v_and_b32_e32 v25, 0xff00, v24
	;; [unrolled: 1-line block ×4, first 2 shown]
	v_or3_b32 v23, v23, 0, 0
	s_delay_alu instid0(VALU_DEP_4) | instskip(NEXT) | instid1(VALU_DEP_1)
	v_or_b32_e32 v9, v9, v25
	v_or3_b32 v24, v9, v26, v24
.LBB1_59:                               ;   in Loop: Header=BB1_3 Depth=1
	s_or_b32 exec_lo, exec_lo, s0
	v_readfirstlane_b32 s0, v33
	v_mov_b32_e32 v31, 0
	v_mov_b32_e32 v32, 0
	s_delay_alu instid0(VALU_DEP_3) | instskip(NEXT) | instid1(VALU_DEP_1)
	v_cmp_eq_u32_e64 s0, s0, v33
	s_and_saveexec_b32 s1, s0
	s_cbranch_execz .LBB1_65
; %bb.60:                               ;   in Loop: Header=BB1_3 Depth=1
	s_waitcnt lgkmcnt(0)
	global_load_b64 v[27:28], v10, s[2:3] offset:24 glc
	s_waitcnt vmcnt(0)
	buffer_gl1_inv
	buffer_gl0_inv
	s_clause 0x1
	global_load_b64 v[25:26], v10, s[2:3] offset:40
	global_load_b64 v[31:32], v10, s[2:3]
	s_mov_b32 s4, exec_lo
	s_waitcnt vmcnt(1)
	v_and_b32_e32 v9, v26, v28
	v_and_b32_e32 v25, v25, v27
	s_delay_alu instid0(VALU_DEP_2) | instskip(NEXT) | instid1(VALU_DEP_2)
	v_mul_lo_u32 v9, v9, 24
	v_mul_hi_u32 v26, v25, 24
	v_mul_lo_u32 v25, v25, 24
	s_delay_alu instid0(VALU_DEP_2) | instskip(SKIP_1) | instid1(VALU_DEP_2)
	v_add_nc_u32_e32 v9, v26, v9
	s_waitcnt vmcnt(0)
	v_add_co_u32 v25, vcc_lo, v31, v25
	s_delay_alu instid0(VALU_DEP_2)
	v_add_co_ci_u32_e32 v26, vcc_lo, v32, v9, vcc_lo
	global_load_b64 v[25:26], v[25:26], off glc
	s_waitcnt vmcnt(0)
	global_atomic_cmpswap_b64 v[31:32], v10, v[25:28], s[2:3] offset:24 glc
	s_waitcnt vmcnt(0)
	buffer_gl1_inv
	buffer_gl0_inv
	v_cmpx_ne_u64_e64 v[31:32], v[27:28]
	s_cbranch_execz .LBB1_64
; %bb.61:                               ;   in Loop: Header=BB1_3 Depth=1
	s_mov_b32 s5, 0
	.p2align	6
.LBB1_62:                               ;   Parent Loop BB1_3 Depth=1
                                        ; =>  This Inner Loop Header: Depth=2
	s_sleep 1
	s_clause 0x1
	global_load_b64 v[25:26], v10, s[2:3] offset:40
	global_load_b64 v[34:35], v10, s[2:3]
	v_dual_mov_b32 v27, v31 :: v_dual_mov_b32 v28, v32
	s_waitcnt vmcnt(1)
	s_delay_alu instid0(VALU_DEP_1) | instskip(SKIP_1) | instid1(VALU_DEP_1)
	v_and_b32_e32 v9, v25, v27
	s_waitcnt vmcnt(0)
	v_mad_u64_u32 v[31:32], null, v9, 24, v[34:35]
	s_delay_alu instid0(VALU_DEP_1) | instskip(NEXT) | instid1(VALU_DEP_1)
	v_dual_mov_b32 v9, v32 :: v_dual_and_b32 v34, v26, v28
	v_mad_u64_u32 v[25:26], null, v34, 24, v[9:10]
	s_delay_alu instid0(VALU_DEP_1)
	v_mov_b32_e32 v32, v25
	global_load_b64 v[25:26], v[31:32], off glc
	s_waitcnt vmcnt(0)
	global_atomic_cmpswap_b64 v[31:32], v10, v[25:28], s[2:3] offset:24 glc
	s_waitcnt vmcnt(0)
	buffer_gl1_inv
	buffer_gl0_inv
	v_cmp_eq_u64_e32 vcc_lo, v[31:32], v[27:28]
	s_or_b32 s5, vcc_lo, s5
	s_delay_alu instid0(SALU_CYCLE_1)
	s_and_not1_b32 exec_lo, exec_lo, s5
	s_cbranch_execnz .LBB1_62
; %bb.63:                               ;   in Loop: Header=BB1_3 Depth=1
	s_or_b32 exec_lo, exec_lo, s5
.LBB1_64:                               ;   in Loop: Header=BB1_3 Depth=1
	s_delay_alu instid0(SALU_CYCLE_1)
	s_or_b32 exec_lo, exec_lo, s4
.LBB1_65:                               ;   in Loop: Header=BB1_3 Depth=1
	s_delay_alu instid0(SALU_CYCLE_1)
	s_or_b32 exec_lo, exec_lo, s1
	s_waitcnt lgkmcnt(0)
	s_clause 0x1
	global_load_b64 v[34:35], v10, s[2:3] offset:40
	global_load_b128 v[25:28], v10, s[2:3]
	v_readfirstlane_b32 s4, v31
	v_readfirstlane_b32 s5, v32
	s_mov_b32 s1, exec_lo
	s_waitcnt vmcnt(1)
	v_readfirstlane_b32 s6, v34
	v_readfirstlane_b32 s7, v35
	s_delay_alu instid0(VALU_DEP_1) | instskip(NEXT) | instid1(SALU_CYCLE_1)
	s_and_b64 s[6:7], s[4:5], s[6:7]
	s_mul_i32 s13, s7, 24
	s_mul_hi_u32 s14, s6, 24
	s_mul_i32 s15, s6, 24
	s_add_i32 s14, s14, s13
	s_waitcnt vmcnt(0)
	v_add_co_u32 v31, vcc_lo, v25, s15
	v_add_co_ci_u32_e32 v32, vcc_lo, s14, v26, vcc_lo
	s_and_saveexec_b32 s13, s0
	s_cbranch_execz .LBB1_67
; %bb.66:                               ;   in Loop: Header=BB1_3 Depth=1
	v_mov_b32_e32 v9, s1
	global_store_b128 v[31:32], v[9:12], off offset:8
.LBB1_67:                               ;   in Loop: Header=BB1_3 Depth=1
	s_or_b32 exec_lo, exec_lo, s13
	v_cmp_lt_u64_e32 vcc_lo, 56, v[4:5]
	v_or_b32_e32 v9, 0, v1
	v_or_b32_e32 v34, v0, v6
	v_lshl_add_u32 v35, v29, 2, 28
	s_lshl_b64 s[6:7], s[6:7], 12
	s_delay_alu instid0(SALU_CYCLE_1) | instskip(NEXT) | instid1(VALU_DEP_1)
	v_add_co_u32 v27, s1, v27, s6
	v_add_co_ci_u32_e64 v28, s1, s7, v28, s1
	v_dual_cndmask_b32 v1, v9, v1 :: v_dual_cndmask_b32 v0, v34, v0
	v_and_b32_e32 v9, 0x1e0, v35
	v_lshlrev_b32_e32 v34, 6, v33
	v_readfirstlane_b32 s6, v27
	v_readfirstlane_b32 s7, v28
	s_delay_alu instid0(VALU_DEP_4)
	v_and_or_b32 v0, 0xffffff1f, v0, v9
	s_clause 0x3
	global_store_b128 v34, v[0:3], s[6:7]
	global_store_b128 v34, v[13:16], s[6:7] offset:16
	global_store_b128 v34, v[17:20], s[6:7] offset:32
	;; [unrolled: 1-line block ×3, first 2 shown]
	s_and_saveexec_b32 s1, s0
	s_cbranch_execz .LBB1_75
; %bb.68:                               ;   in Loop: Header=BB1_3 Depth=1
	s_clause 0x1
	global_load_b64 v[17:18], v10, s[2:3] offset:32 glc
	global_load_b64 v[0:1], v10, s[2:3] offset:40
	v_dual_mov_b32 v15, s4 :: v_dual_mov_b32 v16, s5
	s_waitcnt vmcnt(0)
	v_readfirstlane_b32 s6, v0
	v_readfirstlane_b32 s7, v1
	s_delay_alu instid0(VALU_DEP_1) | instskip(NEXT) | instid1(SALU_CYCLE_1)
	s_and_b64 s[6:7], s[6:7], s[4:5]
	s_mul_i32 s7, s7, 24
	s_mul_hi_u32 s13, s6, 24
	s_mul_i32 s6, s6, 24
	s_add_i32 s13, s13, s7
	v_add_co_u32 v13, vcc_lo, v25, s6
	v_add_co_ci_u32_e32 v14, vcc_lo, s13, v26, vcc_lo
	s_mov_b32 s6, exec_lo
	global_store_b64 v[13:14], v[17:18], off
	s_waitcnt_vscnt null, 0x0
	global_atomic_cmpswap_b64 v[2:3], v10, v[15:18], s[2:3] offset:32 glc
	s_waitcnt vmcnt(0)
	v_cmpx_ne_u64_e64 v[2:3], v[17:18]
	s_cbranch_execz .LBB1_71
; %bb.69:                               ;   in Loop: Header=BB1_3 Depth=1
	s_mov_b32 s7, 0
.LBB1_70:                               ;   Parent Loop BB1_3 Depth=1
                                        ; =>  This Inner Loop Header: Depth=2
	v_dual_mov_b32 v0, s4 :: v_dual_mov_b32 v1, s5
	s_sleep 1
	global_store_b64 v[13:14], v[2:3], off
	s_waitcnt_vscnt null, 0x0
	global_atomic_cmpswap_b64 v[0:1], v10, v[0:3], s[2:3] offset:32 glc
	s_waitcnt vmcnt(0)
	v_cmp_eq_u64_e32 vcc_lo, v[0:1], v[2:3]
	v_dual_mov_b32 v3, v1 :: v_dual_mov_b32 v2, v0
	s_or_b32 s7, vcc_lo, s7
	s_delay_alu instid0(SALU_CYCLE_1)
	s_and_not1_b32 exec_lo, exec_lo, s7
	s_cbranch_execnz .LBB1_70
.LBB1_71:                               ;   in Loop: Header=BB1_3 Depth=1
	s_or_b32 exec_lo, exec_lo, s6
	global_load_b64 v[0:1], v10, s[2:3] offset:16
	s_mov_b32 s7, exec_lo
	s_mov_b32 s6, exec_lo
	v_mbcnt_lo_u32_b32 v2, s7, 0
	s_delay_alu instid0(VALU_DEP_1)
	v_cmpx_eq_u32_e32 0, v2
	s_cbranch_execz .LBB1_73
; %bb.72:                               ;   in Loop: Header=BB1_3 Depth=1
	s_bcnt1_i32_b32 s7, s7
	s_delay_alu instid0(SALU_CYCLE_1)
	v_mov_b32_e32 v9, s7
	s_waitcnt vmcnt(0)
	global_atomic_add_u64 v[0:1], v[9:10], off offset:8
.LBB1_73:                               ;   in Loop: Header=BB1_3 Depth=1
	s_or_b32 exec_lo, exec_lo, s6
	s_waitcnt vmcnt(0)
	global_load_b64 v[2:3], v[0:1], off offset:16
	s_waitcnt vmcnt(0)
	v_cmp_eq_u64_e32 vcc_lo, 0, v[2:3]
	s_cbranch_vccnz .LBB1_75
; %bb.74:                               ;   in Loop: Header=BB1_3 Depth=1
	global_load_b32 v9, v[0:1], off offset:24
	s_waitcnt vmcnt(0)
	v_and_b32_e32 v0, 0xffffff, v9
	s_waitcnt_vscnt null, 0x0
	global_store_b64 v[2:3], v[9:10], off
	v_readfirstlane_b32 m0, v0
	s_sendmsg sendmsg(MSG_INTERRUPT)
.LBB1_75:                               ;   in Loop: Header=BB1_3 Depth=1
	s_or_b32 exec_lo, exec_lo, s1
	v_add_co_u32 v0, vcc_lo, v27, v34
	v_add_co_ci_u32_e32 v1, vcc_lo, 0, v28, vcc_lo
	s_branch .LBB1_79
	.p2align	6
.LBB1_76:                               ;   in Loop: Header=BB1_79 Depth=2
	s_or_b32 exec_lo, exec_lo, s1
	s_delay_alu instid0(VALU_DEP_1) | instskip(NEXT) | instid1(VALU_DEP_1)
	v_readfirstlane_b32 s1, v2
	s_cmp_eq_u32 s1, 0
	s_cbranch_scc1 .LBB1_78
; %bb.77:                               ;   in Loop: Header=BB1_79 Depth=2
	s_sleep 1
	s_cbranch_execnz .LBB1_79
	s_branch .LBB1_81
	.p2align	6
.LBB1_78:                               ;   in Loop: Header=BB1_3 Depth=1
	s_branch .LBB1_81
.LBB1_79:                               ;   Parent Loop BB1_3 Depth=1
                                        ; =>  This Inner Loop Header: Depth=2
	v_mov_b32_e32 v2, 1
	s_and_saveexec_b32 s1, s0
	s_cbranch_execz .LBB1_76
; %bb.80:                               ;   in Loop: Header=BB1_79 Depth=2
	global_load_b32 v2, v[31:32], off offset:20 glc
	s_waitcnt vmcnt(0)
	buffer_gl1_inv
	buffer_gl0_inv
	v_and_b32_e32 v2, 1, v2
	s_branch .LBB1_76
.LBB1_81:                               ;   in Loop: Header=BB1_3 Depth=1
	global_load_b128 v[0:3], v[0:1], off
	s_and_saveexec_b32 s1, s0
	s_cbranch_execz .LBB1_2
; %bb.82:                               ;   in Loop: Header=BB1_3 Depth=1
	s_clause 0x2
	global_load_b64 v[2:3], v10, s[2:3] offset:40
	global_load_b64 v[17:18], v10, s[2:3] offset:24 glc
	global_load_b64 v[15:16], v10, s[2:3]
	s_waitcnt vmcnt(2)
	v_add_co_u32 v9, vcc_lo, v2, 1
	v_add_co_ci_u32_e32 v19, vcc_lo, 0, v3, vcc_lo
	s_delay_alu instid0(VALU_DEP_2) | instskip(NEXT) | instid1(VALU_DEP_2)
	v_add_co_u32 v13, vcc_lo, v9, s4
	v_add_co_ci_u32_e32 v14, vcc_lo, s5, v19, vcc_lo
	s_delay_alu instid0(VALU_DEP_1) | instskip(SKIP_1) | instid1(VALU_DEP_1)
	v_cmp_eq_u64_e32 vcc_lo, 0, v[13:14]
	v_dual_cndmask_b32 v14, v14, v19 :: v_dual_cndmask_b32 v13, v13, v9
	v_and_b32_e32 v3, v14, v3
	s_delay_alu instid0(VALU_DEP_2) | instskip(NEXT) | instid1(VALU_DEP_2)
	v_and_b32_e32 v2, v13, v2
	v_mul_lo_u32 v3, v3, 24
	s_delay_alu instid0(VALU_DEP_2) | instskip(SKIP_1) | instid1(VALU_DEP_2)
	v_mul_hi_u32 v9, v2, 24
	v_mul_lo_u32 v2, v2, 24
	v_add_nc_u32_e32 v3, v9, v3
	s_waitcnt vmcnt(0)
	s_delay_alu instid0(VALU_DEP_2) | instskip(SKIP_1) | instid1(VALU_DEP_3)
	v_add_co_u32 v2, vcc_lo, v15, v2
	v_mov_b32_e32 v15, v17
	v_add_co_ci_u32_e32 v3, vcc_lo, v16, v3, vcc_lo
	v_mov_b32_e32 v16, v18
	global_store_b64 v[2:3], v[17:18], off
	s_waitcnt_vscnt null, 0x0
	global_atomic_cmpswap_b64 v[15:16], v10, v[13:16], s[2:3] offset:24 glc
	s_waitcnt vmcnt(0)
	v_cmp_ne_u64_e32 vcc_lo, v[15:16], v[17:18]
	s_and_b32 exec_lo, exec_lo, vcc_lo
	s_cbranch_execz .LBB1_2
; %bb.83:                               ;   in Loop: Header=BB1_3 Depth=1
	s_mov_b32 s0, 0
.LBB1_84:                               ;   Parent Loop BB1_3 Depth=1
                                        ; =>  This Inner Loop Header: Depth=2
	s_sleep 1
	global_store_b64 v[2:3], v[15:16], off
	s_waitcnt_vscnt null, 0x0
	global_atomic_cmpswap_b64 v[17:18], v10, v[13:16], s[2:3] offset:24 glc
	s_waitcnt vmcnt(0)
	v_cmp_eq_u64_e32 vcc_lo, v[17:18], v[15:16]
	v_dual_mov_b32 v15, v17 :: v_dual_mov_b32 v16, v18
	s_or_b32 s0, vcc_lo, s0
	s_delay_alu instid0(SALU_CYCLE_1)
	s_and_not1_b32 exec_lo, exec_lo, s0
	s_cbranch_execnz .LBB1_84
	s_branch .LBB1_2
.LBB1_85:
	s_or_b32 exec_lo, exec_lo, s12
                                        ; implicit-def: $vgpr0
                                        ; implicit-def: $vgpr33
                                        ; implicit-def: $vgpr1
.LBB1_86:
	s_and_not1_saveexec_b32 s1, s10
	s_cbranch_execz .LBB1_108
; %bb.87:
	s_load_b64 s[2:3], s[8:9], 0x50
	v_readfirstlane_b32 s0, v33
	v_mov_b32_e32 v8, 0
	v_mov_b32_e32 v9, 0
	s_delay_alu instid0(VALU_DEP_3) | instskip(NEXT) | instid1(VALU_DEP_1)
	v_cmp_eq_u32_e64 s0, s0, v33
	s_and_saveexec_b32 s4, s0
	s_cbranch_execz .LBB1_93
; %bb.88:
	s_waitcnt vmcnt(0)
	v_mov_b32_e32 v2, 0
	s_mov_b32 s5, exec_lo
	s_waitcnt lgkmcnt(0)
	global_load_b64 v[5:6], v2, s[2:3] offset:24 glc
	s_waitcnt vmcnt(0)
	buffer_gl1_inv
	buffer_gl0_inv
	s_clause 0x1
	global_load_b64 v[3:4], v2, s[2:3] offset:40
	global_load_b64 v[7:8], v2, s[2:3]
	s_waitcnt vmcnt(1)
	v_and_b32_e32 v3, v3, v5
	v_and_b32_e32 v4, v4, v6
	s_delay_alu instid0(VALU_DEP_2) | instskip(NEXT) | instid1(VALU_DEP_2)
	v_mul_hi_u32 v9, v3, 24
	v_mul_lo_u32 v4, v4, 24
	v_mul_lo_u32 v3, v3, 24
	s_delay_alu instid0(VALU_DEP_2) | instskip(SKIP_1) | instid1(VALU_DEP_2)
	v_add_nc_u32_e32 v4, v9, v4
	s_waitcnt vmcnt(0)
	v_add_co_u32 v3, vcc_lo, v7, v3
	s_delay_alu instid0(VALU_DEP_2)
	v_add_co_ci_u32_e32 v4, vcc_lo, v8, v4, vcc_lo
	global_load_b64 v[3:4], v[3:4], off glc
	s_waitcnt vmcnt(0)
	global_atomic_cmpswap_b64 v[8:9], v2, v[3:6], s[2:3] offset:24 glc
	s_waitcnt vmcnt(0)
	buffer_gl1_inv
	buffer_gl0_inv
	v_cmpx_ne_u64_e64 v[8:9], v[5:6]
	s_cbranch_execz .LBB1_92
; %bb.89:
	s_mov_b32 s6, 0
	.p2align	6
.LBB1_90:                               ; =>This Inner Loop Header: Depth=1
	s_sleep 1
	s_clause 0x1
	global_load_b64 v[3:4], v2, s[2:3] offset:40
	global_load_b64 v[10:11], v2, s[2:3]
	v_dual_mov_b32 v5, v8 :: v_dual_mov_b32 v6, v9
	s_waitcnt vmcnt(1)
	s_delay_alu instid0(VALU_DEP_1) | instskip(NEXT) | instid1(VALU_DEP_2)
	v_and_b32_e32 v3, v3, v5
	v_and_b32_e32 v4, v4, v6
	s_waitcnt vmcnt(0)
	s_delay_alu instid0(VALU_DEP_2) | instskip(NEXT) | instid1(VALU_DEP_1)
	v_mad_u64_u32 v[7:8], null, v3, 24, v[10:11]
	v_mov_b32_e32 v3, v8
	s_delay_alu instid0(VALU_DEP_1)
	v_mad_u64_u32 v[8:9], null, v4, 24, v[3:4]
	global_load_b64 v[3:4], v[7:8], off glc
	s_waitcnt vmcnt(0)
	global_atomic_cmpswap_b64 v[8:9], v2, v[3:6], s[2:3] offset:24 glc
	s_waitcnt vmcnt(0)
	buffer_gl1_inv
	buffer_gl0_inv
	v_cmp_eq_u64_e32 vcc_lo, v[8:9], v[5:6]
	s_or_b32 s6, vcc_lo, s6
	s_delay_alu instid0(SALU_CYCLE_1)
	s_and_not1_b32 exec_lo, exec_lo, s6
	s_cbranch_execnz .LBB1_90
; %bb.91:
	s_or_b32 exec_lo, exec_lo, s6
.LBB1_92:
	s_delay_alu instid0(SALU_CYCLE_1)
	s_or_b32 exec_lo, exec_lo, s5
.LBB1_93:
	s_delay_alu instid0(SALU_CYCLE_1)
	s_or_b32 exec_lo, exec_lo, s4
	s_waitcnt vmcnt(0)
	v_mov_b32_e32 v2, 0
	v_readfirstlane_b32 s4, v8
	v_readfirstlane_b32 s5, v9
	s_mov_b32 s8, exec_lo
	s_waitcnt lgkmcnt(0)
	s_clause 0x1
	global_load_b64 v[10:11], v2, s[2:3] offset:40
	global_load_b128 v[4:7], v2, s[2:3]
	s_waitcnt vmcnt(1)
	v_readfirstlane_b32 s6, v10
	v_readfirstlane_b32 s7, v11
	s_delay_alu instid0(VALU_DEP_1) | instskip(NEXT) | instid1(SALU_CYCLE_1)
	s_and_b64 s[6:7], s[4:5], s[6:7]
	s_mul_i32 s9, s7, 24
	s_mul_hi_u32 s10, s6, 24
	s_mul_i32 s11, s6, 24
	s_add_i32 s10, s10, s9
	s_waitcnt vmcnt(0)
	v_add_co_u32 v8, vcc_lo, v4, s11
	v_add_co_ci_u32_e32 v9, vcc_lo, s10, v5, vcc_lo
	s_and_saveexec_b32 s9, s0
	s_cbranch_execz .LBB1_95
; %bb.94:
	v_dual_mov_b32 v10, s8 :: v_dual_mov_b32 v11, v2
	v_dual_mov_b32 v12, 2 :: v_dual_mov_b32 v13, 1
	global_store_b128 v[8:9], v[10:13], off offset:8
.LBB1_95:
	s_or_b32 exec_lo, exec_lo, s9
	s_lshl_b64 s[6:7], s[6:7], 12
	s_mov_b32 s8, 0
	v_add_co_u32 v6, vcc_lo, v6, s6
	v_add_co_ci_u32_e32 v7, vcc_lo, s7, v7, vcc_lo
	s_mov_b32 s11, s8
	s_mov_b32 s9, s8
	;; [unrolled: 1-line block ×3, first 2 shown]
	v_and_or_b32 v0, 0xffffff1f, v0, 32
	v_dual_mov_b32 v3, v2 :: v_dual_lshlrev_b32 v14, 6, v33
	v_readfirstlane_b32 s6, v6
	v_readfirstlane_b32 s7, v7
	v_dual_mov_b32 v13, s11 :: v_dual_mov_b32 v12, s10
	v_dual_mov_b32 v11, s9 :: v_dual_mov_b32 v10, s8
	s_clause 0x3
	global_store_b128 v14, v[0:3], s[6:7]
	global_store_b128 v14, v[10:13], s[6:7] offset:16
	global_store_b128 v14, v[10:13], s[6:7] offset:32
	;; [unrolled: 1-line block ×3, first 2 shown]
	s_and_saveexec_b32 s6, s0
	s_cbranch_execz .LBB1_102
; %bb.96:
	v_mov_b32_e32 v6, 0
	s_mov_b32 s7, exec_lo
	s_clause 0x1
	global_load_b64 v[12:13], v6, s[2:3] offset:32 glc
	global_load_b64 v[0:1], v6, s[2:3] offset:40
	v_dual_mov_b32 v11, s5 :: v_dual_mov_b32 v10, s4
	s_waitcnt vmcnt(0)
	v_and_b32_e32 v1, s5, v1
	v_and_b32_e32 v0, s4, v0
	s_delay_alu instid0(VALU_DEP_2) | instskip(NEXT) | instid1(VALU_DEP_2)
	v_mul_lo_u32 v1, v1, 24
	v_mul_hi_u32 v2, v0, 24
	v_mul_lo_u32 v0, v0, 24
	s_delay_alu instid0(VALU_DEP_2) | instskip(NEXT) | instid1(VALU_DEP_2)
	v_add_nc_u32_e32 v1, v2, v1
	v_add_co_u32 v4, vcc_lo, v4, v0
	s_delay_alu instid0(VALU_DEP_2)
	v_add_co_ci_u32_e32 v5, vcc_lo, v5, v1, vcc_lo
	global_store_b64 v[4:5], v[12:13], off
	s_waitcnt_vscnt null, 0x0
	global_atomic_cmpswap_b64 v[2:3], v6, v[10:13], s[2:3] offset:32 glc
	s_waitcnt vmcnt(0)
	v_cmpx_ne_u64_e64 v[2:3], v[12:13]
	s_cbranch_execz .LBB1_98
.LBB1_97:                               ; =>This Inner Loop Header: Depth=1
	v_dual_mov_b32 v0, s4 :: v_dual_mov_b32 v1, s5
	s_sleep 1
	global_store_b64 v[4:5], v[2:3], off
	s_waitcnt_vscnt null, 0x0
	global_atomic_cmpswap_b64 v[0:1], v6, v[0:3], s[2:3] offset:32 glc
	s_waitcnt vmcnt(0)
	v_cmp_eq_u64_e32 vcc_lo, v[0:1], v[2:3]
	v_dual_mov_b32 v3, v1 :: v_dual_mov_b32 v2, v0
	s_or_b32 s8, vcc_lo, s8
	s_delay_alu instid0(SALU_CYCLE_1)
	s_and_not1_b32 exec_lo, exec_lo, s8
	s_cbranch_execnz .LBB1_97
.LBB1_98:
	s_or_b32 exec_lo, exec_lo, s7
	v_mov_b32_e32 v3, 0
	s_mov_b32 s8, exec_lo
	s_mov_b32 s7, exec_lo
	v_mbcnt_lo_u32_b32 v2, s8, 0
	global_load_b64 v[0:1], v3, s[2:3] offset:16
	v_cmpx_eq_u32_e32 0, v2
	s_cbranch_execz .LBB1_100
; %bb.99:
	s_bcnt1_i32_b32 s8, s8
	s_delay_alu instid0(SALU_CYCLE_1)
	v_mov_b32_e32 v2, s8
	s_waitcnt vmcnt(0)
	global_atomic_add_u64 v[0:1], v[2:3], off offset:8
.LBB1_100:
	s_or_b32 exec_lo, exec_lo, s7
	s_waitcnt vmcnt(0)
	global_load_b64 v[2:3], v[0:1], off offset:16
	s_waitcnt vmcnt(0)
	v_cmp_eq_u64_e32 vcc_lo, 0, v[2:3]
	s_cbranch_vccnz .LBB1_102
; %bb.101:
	global_load_b32 v0, v[0:1], off offset:24
	s_waitcnt vmcnt(0)
	v_dual_mov_b32 v1, 0 :: v_dual_and_b32 v4, 0xffffff, v0
	s_waitcnt_vscnt null, 0x0
	global_store_b64 v[2:3], v[0:1], off
	v_readfirstlane_b32 m0, v4
	s_sendmsg sendmsg(MSG_INTERRUPT)
.LBB1_102:
	s_or_b32 exec_lo, exec_lo, s6
	s_branch .LBB1_106
	.p2align	6
.LBB1_103:                              ;   in Loop: Header=BB1_106 Depth=1
	s_or_b32 exec_lo, exec_lo, s6
	s_delay_alu instid0(VALU_DEP_1) | instskip(NEXT) | instid1(VALU_DEP_1)
	v_readfirstlane_b32 s6, v0
	s_cmp_eq_u32 s6, 0
	s_cbranch_scc1 .LBB1_105
; %bb.104:                              ;   in Loop: Header=BB1_106 Depth=1
	s_sleep 1
	s_cbranch_execnz .LBB1_106
	s_branch .LBB1_109
	.p2align	6
.LBB1_105:
	s_branch .LBB1_109
.LBB1_106:                              ; =>This Inner Loop Header: Depth=1
	v_mov_b32_e32 v0, 1
	s_and_saveexec_b32 s6, s0
	s_cbranch_execz .LBB1_103
; %bb.107:                              ;   in Loop: Header=BB1_106 Depth=1
	global_load_b32 v0, v[8:9], off offset:20 glc
	s_waitcnt vmcnt(0)
	buffer_gl1_inv
	buffer_gl0_inv
	v_and_b32_e32 v0, 1, v0
	s_branch .LBB1_103
.LBB1_108:
	s_or_b32 exec_lo, exec_lo, s1
	s_waitcnt vmcnt(0) lgkmcnt(0)
	s_setpc_b64 s[30:31]
.LBB1_109:
	s_and_saveexec_b32 s6, s0
	s_cbranch_execz .LBB1_113
; %bb.110:
	v_mov_b32_e32 v6, 0
	s_clause 0x2
	global_load_b64 v[2:3], v6, s[2:3] offset:40
	global_load_b64 v[7:8], v6, s[2:3] offset:24 glc
	global_load_b64 v[4:5], v6, s[2:3]
	s_waitcnt vmcnt(2)
	v_add_co_u32 v9, vcc_lo, v2, 1
	v_add_co_ci_u32_e32 v10, vcc_lo, 0, v3, vcc_lo
	s_delay_alu instid0(VALU_DEP_2) | instskip(NEXT) | instid1(VALU_DEP_2)
	v_add_co_u32 v0, vcc_lo, v9, s4
	v_add_co_ci_u32_e32 v1, vcc_lo, s5, v10, vcc_lo
	s_delay_alu instid0(VALU_DEP_1) | instskip(SKIP_1) | instid1(VALU_DEP_1)
	v_cmp_eq_u64_e32 vcc_lo, 0, v[0:1]
	v_dual_cndmask_b32 v1, v1, v10 :: v_dual_cndmask_b32 v0, v0, v9
	v_and_b32_e32 v3, v1, v3
	s_delay_alu instid0(VALU_DEP_2) | instskip(NEXT) | instid1(VALU_DEP_2)
	v_and_b32_e32 v2, v0, v2
	v_mul_lo_u32 v3, v3, 24
	s_delay_alu instid0(VALU_DEP_2) | instskip(SKIP_1) | instid1(VALU_DEP_2)
	v_mul_hi_u32 v9, v2, 24
	v_mul_lo_u32 v2, v2, 24
	v_add_nc_u32_e32 v3, v9, v3
	s_waitcnt vmcnt(0)
	s_delay_alu instid0(VALU_DEP_2) | instskip(SKIP_1) | instid1(VALU_DEP_3)
	v_add_co_u32 v4, vcc_lo, v4, v2
	v_mov_b32_e32 v2, v7
	v_add_co_ci_u32_e32 v5, vcc_lo, v5, v3, vcc_lo
	v_mov_b32_e32 v3, v8
	global_store_b64 v[4:5], v[7:8], off
	s_waitcnt_vscnt null, 0x0
	global_atomic_cmpswap_b64 v[2:3], v6, v[0:3], s[2:3] offset:24 glc
	s_waitcnt vmcnt(0)
	v_cmp_ne_u64_e32 vcc_lo, v[2:3], v[7:8]
	s_and_b32 exec_lo, exec_lo, vcc_lo
	s_cbranch_execz .LBB1_113
; %bb.111:
	s_mov_b32 s0, 0
.LBB1_112:                              ; =>This Inner Loop Header: Depth=1
	s_sleep 1
	global_store_b64 v[4:5], v[2:3], off
	s_waitcnt_vscnt null, 0x0
	global_atomic_cmpswap_b64 v[7:8], v6, v[0:3], s[2:3] offset:24 glc
	s_waitcnt vmcnt(0)
	v_cmp_eq_u64_e32 vcc_lo, v[7:8], v[2:3]
	v_dual_mov_b32 v2, v7 :: v_dual_mov_b32 v3, v8
	s_or_b32 s0, vcc_lo, s0
	s_delay_alu instid0(SALU_CYCLE_1)
	s_and_not1_b32 exec_lo, exec_lo, s0
	s_cbranch_execnz .LBB1_112
.LBB1_113:
	s_or_b32 exec_lo, exec_lo, s6
	s_delay_alu instid0(SALU_CYCLE_1)
	s_or_b32 exec_lo, exec_lo, s1
	s_waitcnt lgkmcnt(0)
	s_setpc_b64 s[30:31]
.Lfunc_end1:
	.size	__ockl_fprintf_append_string_n, .Lfunc_end1-__ockl_fprintf_append_string_n
                                        ; -- End function
	.section	.AMDGPU.csdata,"",@progbits
; Function info:
; codeLenInByte = 4740
; NumSgprs: 34
; NumVgprs: 36
; ScratchSize: 0
; MemoryBound: 0
	.text
	.p2align	2                               ; -- Begin function __assert_fail
	.type	__assert_fail,@function
__assert_fail:                          ; @__assert_fail
; %bb.0:
	s_waitcnt vmcnt(0) expcnt(0) lgkmcnt(0)
	s_mov_b32 s16, s33
	s_mov_b32 s33, s32
	s_or_saveexec_b32 s0, -1
	scratch_store_b32 off, v40, s33 offset:48 ; 4-byte Folded Spill
	s_mov_b32 exec_lo, s0
	v_writelane_b32 v40, s30, 0
	s_add_i32 s32, s32, 64
	v_writelane_b32 v40, s31, 1
	s_getpc_b64 s[0:1]
	s_add_u32 s0, s0, __const.__assert_fail.fmt@rel32@lo+4
	s_addc_u32 s1, s1, __const.__assert_fail.fmt@rel32@hi+12
	s_getpc_b64 s[2:3]
	s_add_u32 s2, s2, __const.__assert_fail.fmt@rel32@lo+20
	s_addc_u32 s3, s3, __const.__assert_fail.fmt@rel32@hi+28
	v_mbcnt_lo_u32_b32 v49, -1, 0
	s_clause 0x1
	s_load_b128 s[4:7], s[0:1], 0x0
	s_load_b128 s[12:15], s[2:3], 0x0
	s_load_b64 s[2:3], s[8:9], 0x50
	v_dual_mov_b32 v8, v1 :: v_dual_mov_b32 v7, v0
	v_dual_mov_b32 v9, 0 :: v_dual_mov_b32 v18, 0x73256020
	v_readfirstlane_b32 s0, v49
	v_mov_b32_e32 v21, 0xa2e
	v_mov_b32_e32 v19, 0x61662027
	v_mov_b32_e32 v20, 0x64656c69
	v_mov_b32_e32 v0, 0
	v_cmp_eq_u32_e64 s0, s0, v49
	v_mov_b32_e32 v1, 0
	s_waitcnt lgkmcnt(0)
	v_mov_b32_e32 v13, s7
	v_mov_b32_e32 v17, s15
	v_dual_mov_b32 v15, s13 :: v_dual_mov_b32 v12, s6
	v_dual_mov_b32 v11, s5 :: v_dual_mov_b32 v14, s12
	v_mov_b32_e32 v10, s4
	v_mov_b32_e32 v16, s14
	s_clause 0x4
	scratch_store_b128 off, v[10:13], s33
	scratch_store_b128 off, v[14:17], s33 offset:16
	scratch_store_b8 off, v9, s33 offset:46
	scratch_store_b16 off, v21, s33 offset:44
	scratch_store_b96 off, v[18:20], s33 offset:32
	s_and_saveexec_b32 s1, s0
	s_cbranch_execz .LBB2_6
; %bb.1:
	global_load_b64 v[12:13], v9, s[2:3] offset:24 glc
	s_waitcnt vmcnt(0)
	buffer_gl1_inv
	buffer_gl0_inv
	s_clause 0x1
	global_load_b64 v[0:1], v9, s[2:3] offset:40
	global_load_b64 v[10:11], v9, s[2:3]
	s_mov_b32 s4, exec_lo
	s_waitcnt vmcnt(1)
	v_and_b32_e32 v1, v1, v13
	v_and_b32_e32 v0, v0, v12
	s_delay_alu instid0(VALU_DEP_2) | instskip(NEXT) | instid1(VALU_DEP_2)
	v_mul_lo_u32 v1, v1, 24
	v_mul_hi_u32 v14, v0, 24
	v_mul_lo_u32 v0, v0, 24
	s_delay_alu instid0(VALU_DEP_2) | instskip(SKIP_1) | instid1(VALU_DEP_2)
	v_add_nc_u32_e32 v1, v14, v1
	s_waitcnt vmcnt(0)
	v_add_co_u32 v0, vcc_lo, v10, v0
	s_delay_alu instid0(VALU_DEP_2)
	v_add_co_ci_u32_e32 v1, vcc_lo, v11, v1, vcc_lo
	global_load_b64 v[10:11], v[0:1], off glc
	s_waitcnt vmcnt(0)
	global_atomic_cmpswap_b64 v[0:1], v9, v[10:13], s[2:3] offset:24 glc
	s_waitcnt vmcnt(0)
	buffer_gl1_inv
	buffer_gl0_inv
	v_cmpx_ne_u64_e64 v[0:1], v[12:13]
	s_cbranch_execz .LBB2_5
; %bb.2:
	s_mov_b32 s5, 0
	.p2align	6
.LBB2_3:                                ; =>This Inner Loop Header: Depth=1
	s_sleep 1
	s_clause 0x1
	global_load_b64 v[10:11], v9, s[2:3] offset:40
	global_load_b64 v[14:15], v9, s[2:3]
	v_dual_mov_b32 v13, v1 :: v_dual_mov_b32 v12, v0
	s_waitcnt vmcnt(1)
	s_delay_alu instid0(VALU_DEP_1) | instskip(SKIP_1) | instid1(VALU_DEP_1)
	v_and_b32_e32 v10, v10, v12
	s_waitcnt vmcnt(0)
	v_mad_u64_u32 v[0:1], null, v10, 24, v[14:15]
	v_and_b32_e32 v14, v11, v13
	s_delay_alu instid0(VALU_DEP_1) | instskip(NEXT) | instid1(VALU_DEP_1)
	v_mad_u64_u32 v[10:11], null, v14, 24, v[1:2]
	v_mov_b32_e32 v1, v10
	global_load_b64 v[10:11], v[0:1], off glc
	s_waitcnt vmcnt(0)
	global_atomic_cmpswap_b64 v[0:1], v9, v[10:13], s[2:3] offset:24 glc
	s_waitcnt vmcnt(0)
	buffer_gl1_inv
	buffer_gl0_inv
	v_cmp_eq_u64_e32 vcc_lo, v[0:1], v[12:13]
	s_or_b32 s5, vcc_lo, s5
	s_delay_alu instid0(SALU_CYCLE_1)
	s_and_not1_b32 exec_lo, exec_lo, s5
	s_cbranch_execnz .LBB2_3
; %bb.4:
	s_or_b32 exec_lo, exec_lo, s5
.LBB2_5:
	s_delay_alu instid0(SALU_CYCLE_1)
	s_or_b32 exec_lo, exec_lo, s4
.LBB2_6:
	s_delay_alu instid0(SALU_CYCLE_1)
	s_or_b32 exec_lo, exec_lo, s1
	s_clause 0x1
	global_load_b64 v[10:11], v9, s[2:3] offset:40
	global_load_b128 v[13:16], v9, s[2:3]
	v_readfirstlane_b32 s4, v0
	v_readfirstlane_b32 s5, v1
	s_mov_b32 s1, exec_lo
	s_waitcnt vmcnt(1)
	v_readfirstlane_b32 s6, v10
	v_readfirstlane_b32 s7, v11
	s_delay_alu instid0(VALU_DEP_1) | instskip(NEXT) | instid1(SALU_CYCLE_1)
	s_and_b64 s[6:7], s[4:5], s[6:7]
	s_mul_i32 s10, s7, 24
	s_mul_hi_u32 s11, s6, 24
	s_mul_i32 s12, s6, 24
	s_add_i32 s11, s11, s10
	s_waitcnt vmcnt(0)
	v_add_co_u32 v0, vcc_lo, v13, s12
	v_add_co_ci_u32_e32 v1, vcc_lo, s11, v14, vcc_lo
	s_and_saveexec_b32 s10, s0
	s_cbranch_execz .LBB2_8
; %bb.7:
	v_dual_mov_b32 v9, s1 :: v_dual_mov_b32 v10, 0
	v_dual_mov_b32 v11, 2 :: v_dual_mov_b32 v12, 1
	global_store_b128 v[0:1], v[9:12], off offset:8
.LBB2_8:
	s_or_b32 exec_lo, exec_lo, s10
	s_lshl_b64 s[6:7], s[6:7], 12
	v_dual_mov_b32 v11, 1 :: v_dual_lshlrev_b32 v48, 6, v49
	v_add_co_u32 v15, vcc_lo, v15, s6
	v_add_co_ci_u32_e32 v16, vcc_lo, s7, v16, vcc_lo
	v_dual_mov_b32 v10, 0 :: v_dual_mov_b32 v9, 33
	s_mov_b32 s12, 0
	s_delay_alu instid0(VALU_DEP_3)
	v_readfirstlane_b32 s6, v15
	s_mov_b32 s15, s12
	v_add_co_u32 v15, vcc_lo, v15, v48
	s_mov_b32 s13, s12
	s_mov_b32 s14, s12
	v_mov_b32_e32 v12, v10
	v_readfirstlane_b32 s7, v16
	v_dual_mov_b32 v20, s15 :: v_dual_mov_b32 v17, s12
	v_add_co_ci_u32_e32 v16, vcc_lo, 0, v16, vcc_lo
	v_dual_mov_b32 v19, s14 :: v_dual_mov_b32 v18, s13
	s_clause 0x3
	global_store_b128 v48, v[9:12], s[6:7]
	global_store_b128 v48, v[17:20], s[6:7] offset:16
	global_store_b128 v48, v[17:20], s[6:7] offset:32
	global_store_b128 v48, v[17:20], s[6:7] offset:48
	s_and_saveexec_b32 s1, s0
	s_cbranch_execz .LBB2_16
; %bb.9:
	s_clause 0x1
	global_load_b64 v[21:22], v10, s[2:3] offset:32 glc
	global_load_b64 v[11:12], v10, s[2:3] offset:40
	v_mov_b32_e32 v19, s4
	s_mov_b32 s6, exec_lo
	s_waitcnt vmcnt(0)
	v_dual_mov_b32 v20, s5 :: v_dual_and_b32 v9, s5, v12
	v_and_b32_e32 v11, s4, v11
	s_delay_alu instid0(VALU_DEP_2) | instskip(NEXT) | instid1(VALU_DEP_2)
	v_mul_lo_u32 v9, v9, 24
	v_mul_hi_u32 v12, v11, 24
	v_mul_lo_u32 v11, v11, 24
	s_delay_alu instid0(VALU_DEP_2) | instskip(NEXT) | instid1(VALU_DEP_2)
	v_add_nc_u32_e32 v9, v12, v9
	v_add_co_u32 v17, vcc_lo, v13, v11
	s_delay_alu instid0(VALU_DEP_2)
	v_add_co_ci_u32_e32 v18, vcc_lo, v14, v9, vcc_lo
	global_store_b64 v[17:18], v[21:22], off
	s_waitcnt_vscnt null, 0x0
	global_atomic_cmpswap_b64 v[13:14], v10, v[19:22], s[2:3] offset:32 glc
	s_waitcnt vmcnt(0)
	v_cmpx_ne_u64_e64 v[13:14], v[21:22]
	s_cbranch_execz .LBB2_12
; %bb.10:
	s_mov_b32 s7, 0
.LBB2_11:                               ; =>This Inner Loop Header: Depth=1
	v_dual_mov_b32 v11, s4 :: v_dual_mov_b32 v12, s5
	s_sleep 1
	global_store_b64 v[17:18], v[13:14], off
	s_waitcnt_vscnt null, 0x0
	global_atomic_cmpswap_b64 v[11:12], v10, v[11:14], s[2:3] offset:32 glc
	s_waitcnt vmcnt(0)
	v_cmp_eq_u64_e32 vcc_lo, v[11:12], v[13:14]
	v_dual_mov_b32 v14, v12 :: v_dual_mov_b32 v13, v11
	s_or_b32 s7, vcc_lo, s7
	s_delay_alu instid0(SALU_CYCLE_1)
	s_and_not1_b32 exec_lo, exec_lo, s7
	s_cbranch_execnz .LBB2_11
.LBB2_12:
	s_or_b32 exec_lo, exec_lo, s6
	v_mov_b32_e32 v12, 0
	s_mov_b32 s7, exec_lo
	s_mov_b32 s6, exec_lo
	v_mbcnt_lo_u32_b32 v11, s7, 0
	global_load_b64 v[9:10], v12, s[2:3] offset:16
	v_cmpx_eq_u32_e32 0, v11
	s_cbranch_execz .LBB2_14
; %bb.13:
	s_bcnt1_i32_b32 s7, s7
	s_delay_alu instid0(SALU_CYCLE_1)
	v_mov_b32_e32 v11, s7
	s_waitcnt vmcnt(0)
	global_atomic_add_u64 v[9:10], v[11:12], off offset:8
.LBB2_14:
	s_or_b32 exec_lo, exec_lo, s6
	s_waitcnt vmcnt(0)
	global_load_b64 v[11:12], v[9:10], off offset:16
	s_waitcnt vmcnt(0)
	v_cmp_eq_u64_e32 vcc_lo, 0, v[11:12]
	s_cbranch_vccnz .LBB2_16
; %bb.15:
	global_load_b32 v9, v[9:10], off offset:24
	s_waitcnt vmcnt(0)
	v_dual_mov_b32 v10, 0 :: v_dual_and_b32 v13, 0xffffff, v9
	s_waitcnt_vscnt null, 0x0
	global_store_b64 v[11:12], v[9:10], off
	v_readfirstlane_b32 m0, v13
	s_sendmsg sendmsg(MSG_INTERRUPT)
.LBB2_16:
	s_or_b32 exec_lo, exec_lo, s1
	s_branch .LBB2_20
	.p2align	6
.LBB2_17:                               ;   in Loop: Header=BB2_20 Depth=1
	s_or_b32 exec_lo, exec_lo, s1
	s_delay_alu instid0(VALU_DEP_1) | instskip(NEXT) | instid1(VALU_DEP_1)
	v_readfirstlane_b32 s1, v9
	s_cmp_eq_u32 s1, 0
	s_cbranch_scc1 .LBB2_19
; %bb.18:                               ;   in Loop: Header=BB2_20 Depth=1
	s_sleep 1
	s_cbranch_execnz .LBB2_20
	s_branch .LBB2_22
	.p2align	6
.LBB2_19:
	s_branch .LBB2_22
.LBB2_20:                               ; =>This Inner Loop Header: Depth=1
	v_mov_b32_e32 v9, 1
	s_and_saveexec_b32 s1, s0
	s_cbranch_execz .LBB2_17
; %bb.21:                               ;   in Loop: Header=BB2_20 Depth=1
	global_load_b32 v9, v[0:1], off offset:20 glc
	s_waitcnt vmcnt(0)
	buffer_gl1_inv
	buffer_gl0_inv
	v_and_b32_e32 v9, 1, v9
	s_branch .LBB2_17
.LBB2_22:
	global_load_b64 v[13:14], v[15:16], off
	s_and_saveexec_b32 s1, s0
	s_cbranch_execz .LBB2_26
; %bb.23:
	v_mov_b32_e32 v15, 0
	s_clause 0x2
	global_load_b64 v[0:1], v15, s[2:3] offset:40
	global_load_b64 v[16:17], v15, s[2:3] offset:24 glc
	global_load_b64 v[11:12], v15, s[2:3]
	s_waitcnt vmcnt(2)
	v_add_co_u32 v18, vcc_lo, v0, 1
	v_add_co_ci_u32_e32 v19, vcc_lo, 0, v1, vcc_lo
	s_delay_alu instid0(VALU_DEP_2) | instskip(NEXT) | instid1(VALU_DEP_2)
	v_add_co_u32 v9, vcc_lo, v18, s4
	v_add_co_ci_u32_e32 v10, vcc_lo, s5, v19, vcc_lo
	s_delay_alu instid0(VALU_DEP_1) | instskip(SKIP_1) | instid1(VALU_DEP_1)
	v_cmp_eq_u64_e32 vcc_lo, 0, v[9:10]
	v_dual_cndmask_b32 v10, v10, v19 :: v_dual_cndmask_b32 v9, v9, v18
	v_and_b32_e32 v1, v10, v1
	s_delay_alu instid0(VALU_DEP_2) | instskip(NEXT) | instid1(VALU_DEP_2)
	v_and_b32_e32 v0, v9, v0
	v_mul_lo_u32 v1, v1, 24
	s_delay_alu instid0(VALU_DEP_2) | instskip(SKIP_1) | instid1(VALU_DEP_2)
	v_mul_hi_u32 v18, v0, 24
	v_mul_lo_u32 v0, v0, 24
	v_add_nc_u32_e32 v1, v18, v1
	s_waitcnt vmcnt(0)
	s_delay_alu instid0(VALU_DEP_2) | instskip(SKIP_1) | instid1(VALU_DEP_3)
	v_add_co_u32 v0, vcc_lo, v11, v0
	v_mov_b32_e32 v11, v16
	v_add_co_ci_u32_e32 v1, vcc_lo, v12, v1, vcc_lo
	v_mov_b32_e32 v12, v17
	global_store_b64 v[0:1], v[16:17], off
	s_waitcnt_vscnt null, 0x0
	global_atomic_cmpswap_b64 v[11:12], v15, v[9:12], s[2:3] offset:24 glc
	s_waitcnt vmcnt(0)
	v_cmp_ne_u64_e32 vcc_lo, v[11:12], v[16:17]
	s_and_b32 exec_lo, exec_lo, vcc_lo
	s_cbranch_execz .LBB2_26
; %bb.24:
	s_mov_b32 s0, 0
.LBB2_25:                               ; =>This Inner Loop Header: Depth=1
	s_sleep 1
	global_store_b64 v[0:1], v[11:12], off
	s_waitcnt_vscnt null, 0x0
	global_atomic_cmpswap_b64 v[16:17], v15, v[9:12], s[2:3] offset:24 glc
	s_waitcnt vmcnt(0)
	v_cmp_eq_u64_e32 vcc_lo, v[16:17], v[11:12]
	v_dual_mov_b32 v11, v16 :: v_dual_mov_b32 v12, v17
	s_or_b32 s0, vcc_lo, s0
	s_delay_alu instid0(SALU_CYCLE_1)
	s_and_not1_b32 exec_lo, exec_lo, s0
	s_cbranch_execnz .LBB2_25
.LBB2_26:
	s_or_b32 exec_lo, exec_lo, s1
	v_mov_b32_e32 v1, s33
	s_mov_b32 s0, 0
.LBB2_27:                               ; =>This Inner Loop Header: Depth=1
	scratch_load_u8 v9, v1, off
	v_add_nc_u32_e32 v0, 1, v1
	s_delay_alu instid0(VALU_DEP_1) | instskip(SKIP_3) | instid1(SALU_CYCLE_1)
	v_mov_b32_e32 v1, v0
	s_waitcnt vmcnt(0)
	v_cmp_eq_u16_e32 vcc_lo, 0, v9
	s_or_b32 s0, vcc_lo, s0
	s_and_not1_b32 exec_lo, exec_lo, s0
	s_cbranch_execnz .LBB2_27
; %bb.28:
	s_or_b32 exec_lo, exec_lo, s0
	v_cmp_ne_u32_e64 s0, -1, s33
	s_delay_alu instid0(VALU_DEP_1)
	s_and_b32 vcc_lo, exec_lo, s0
	s_cbranch_vccz .LBB2_113
; %bb.29:
	v_subrev_nc_u32_e32 v0, s33, v0
	v_dual_mov_b32 v16, 0 :: v_dual_and_b32 v39, 2, v13
	v_dual_mov_b32 v10, v14 :: v_dual_and_b32 v9, -3, v13
	s_delay_alu instid0(VALU_DEP_3)
	v_ashrrev_i32_e32 v1, 31, v0
	v_dual_mov_b32 v50, s33 :: v_dual_mov_b32 v17, 2
	v_mov_b32_e32 v18, 1
	s_mov_b32 s11, 0
	s_mov_b32 s10, 0
	s_branch .LBB2_31
.LBB2_30:                               ;   in Loop: Header=BB2_31 Depth=1
	s_or_b32 exec_lo, exec_lo, s1
	v_sub_co_u32 v0, vcc_lo, v0, v35
	v_sub_co_ci_u32_e32 v1, vcc_lo, v1, v36, vcc_lo
	v_add_nc_u32_e32 v50, v50, v35
	s_delay_alu instid0(VALU_DEP_2) | instskip(SKIP_1) | instid1(SALU_CYCLE_1)
	v_cmp_eq_u64_e32 vcc_lo, 0, v[0:1]
	s_or_b32 s10, vcc_lo, s10
	s_and_not1_b32 exec_lo, exec_lo, s10
	s_cbranch_execz .LBB2_114
.LBB2_31:                               ; =>This Loop Header: Depth=1
                                        ;     Child Loop BB2_34 Depth 2
                                        ;     Child Loop BB2_42 Depth 2
	;; [unrolled: 1-line block ×11, first 2 shown]
	v_cmp_gt_u64_e32 vcc_lo, 56, v[0:1]
	s_mov_b32 s4, exec_lo
                                        ; implicit-def: $vgpr11_vgpr12
                                        ; implicit-def: $sgpr1
	v_dual_cndmask_b32 v36, 0, v1 :: v_dual_cndmask_b32 v35, 56, v0
	v_cmpx_gt_u64_e32 8, v[0:1]
	s_xor_b32 s4, exec_lo, s4
	s_cbranch_execz .LBB2_37
; %bb.32:                               ;   in Loop: Header=BB2_31 Depth=1
	s_waitcnt vmcnt(0)
	v_mov_b32_e32 v11, 0
	v_mov_b32_e32 v12, 0
	s_mov_b64 s[0:1], 0
	s_mov_b32 s5, exec_lo
	v_cmpx_ne_u64_e32 0, v[0:1]
	s_cbranch_execz .LBB2_36
; %bb.33:                               ;   in Loop: Header=BB2_31 Depth=1
	v_lshlrev_b64 v[19:20], 3, v[35:36]
	v_mov_b32_e32 v11, 0
	v_dual_mov_b32 v12, 0 :: v_dual_mov_b32 v15, v50
	s_mov_b32 s6, 0
.LBB2_34:                               ;   Parent Loop BB2_31 Depth=1
                                        ; =>  This Inner Loop Header: Depth=2
	scratch_load_u8 v20, v15, off
	v_mov_b32_e32 v21, s11
	v_add_nc_u32_e32 v15, 1, v15
	s_waitcnt vmcnt(0)
	v_and_b32_e32 v20, 0xffff, v20
	s_delay_alu instid0(VALU_DEP_1) | instskip(SKIP_3) | instid1(VALU_DEP_2)
	v_lshlrev_b64 v[20:21], s0, v[20:21]
	s_add_u32 s0, s0, 8
	s_addc_u32 s1, s1, 0
	v_cmp_eq_u32_e32 vcc_lo, s0, v19
	v_or_b32_e32 v12, v21, v12
	s_delay_alu instid0(VALU_DEP_3) | instskip(SKIP_1) | instid1(SALU_CYCLE_1)
	v_or_b32_e32 v11, v20, v11
	s_or_b32 s6, vcc_lo, s6
	s_and_not1_b32 exec_lo, exec_lo, s6
	s_cbranch_execnz .LBB2_34
; %bb.35:                               ;   in Loop: Header=BB2_31 Depth=1
	s_or_b32 exec_lo, exec_lo, s6
.LBB2_36:                               ;   in Loop: Header=BB2_31 Depth=1
	s_delay_alu instid0(SALU_CYCLE_1)
	s_or_b32 exec_lo, exec_lo, s5
	s_mov_b32 s1, 0
.LBB2_37:                               ;   in Loop: Header=BB2_31 Depth=1
	s_or_saveexec_b32 s0, s4
	v_mov_b32_e32 v21, s1
	v_mov_b32_e32 v15, v50
	s_xor_b32 exec_lo, exec_lo, s0
	s_cbranch_execz .LBB2_39
; %bb.38:                               ;   in Loop: Header=BB2_31 Depth=1
	scratch_load_b64 v[11:12], v50, off
	v_add_nc_u32_e32 v21, -8, v35
	s_waitcnt vmcnt(0)
	v_and_b32_e32 v15, 0xff, v12
	v_and_b32_e32 v19, 0xff00, v12
	;; [unrolled: 1-line block ×4, first 2 shown]
	v_or3_b32 v11, v11, 0, 0
	s_delay_alu instid0(VALU_DEP_4) | instskip(NEXT) | instid1(VALU_DEP_1)
	v_or_b32_e32 v15, v15, v19
	v_or3_b32 v12, v15, v20, v12
	v_add_nc_u32_e32 v15, 8, v50
.LBB2_39:                               ;   in Loop: Header=BB2_31 Depth=1
	s_or_b32 exec_lo, exec_lo, s0
                                        ; implicit-def: $vgpr19_vgpr20
                                        ; implicit-def: $sgpr1
	s_delay_alu instid0(SALU_CYCLE_1)
	s_mov_b32 s0, exec_lo
	v_cmpx_gt_u32_e32 8, v21
	s_xor_b32 s4, exec_lo, s0
	s_cbranch_execz .LBB2_45
; %bb.40:                               ;   in Loop: Header=BB2_31 Depth=1
	v_mov_b32_e32 v19, 0
	v_mov_b32_e32 v20, 0
	s_mov_b32 s5, exec_lo
	v_cmpx_ne_u32_e32 0, v21
	s_cbranch_execz .LBB2_44
; %bb.41:                               ;   in Loop: Header=BB2_31 Depth=1
	v_mov_b32_e32 v19, 0
	v_mov_b32_e32 v20, 0
	s_mov_b64 s[0:1], 0
	s_mov_b32 s6, 0
	s_mov_b32 s7, 0
	.p2align	6
.LBB2_42:                               ;   Parent Loop BB2_31 Depth=1
                                        ; =>  This Inner Loop Header: Depth=2
	s_delay_alu instid0(SALU_CYCLE_1) | instskip(SKIP_1) | instid1(SALU_CYCLE_1)
	v_dual_mov_b32 v23, s11 :: v_dual_add_nc_u32 v22, s7, v15
	s_add_i32 s7, s7, 1
	v_cmp_eq_u32_e32 vcc_lo, s7, v21
	scratch_load_u8 v22, v22, off
	s_waitcnt vmcnt(0)
	v_and_b32_e32 v22, 0xffff, v22
	s_delay_alu instid0(VALU_DEP_1) | instskip(SKIP_3) | instid1(VALU_DEP_1)
	v_lshlrev_b64 v[22:23], s0, v[22:23]
	s_add_u32 s0, s0, 8
	s_addc_u32 s1, s1, 0
	s_or_b32 s6, vcc_lo, s6
	v_or_b32_e32 v20, v23, v20
	s_delay_alu instid0(VALU_DEP_2)
	v_or_b32_e32 v19, v22, v19
	s_and_not1_b32 exec_lo, exec_lo, s6
	s_cbranch_execnz .LBB2_42
; %bb.43:                               ;   in Loop: Header=BB2_31 Depth=1
	s_or_b32 exec_lo, exec_lo, s6
.LBB2_44:                               ;   in Loop: Header=BB2_31 Depth=1
	s_delay_alu instid0(SALU_CYCLE_1)
	s_or_b32 exec_lo, exec_lo, s5
	s_mov_b32 s1, 0
                                        ; implicit-def: $vgpr21
.LBB2_45:                               ;   in Loop: Header=BB2_31 Depth=1
	s_or_saveexec_b32 s0, s4
	v_mov_b32_e32 v23, s1
	s_xor_b32 exec_lo, exec_lo, s0
	s_cbranch_execz .LBB2_47
; %bb.46:                               ;   in Loop: Header=BB2_31 Depth=1
	scratch_load_b64 v[19:20], v15, off
	v_add_nc_u32_e32 v15, 8, v15
	s_waitcnt vmcnt(0)
	v_and_b32_e32 v22, 0xff, v20
	v_and_b32_e32 v23, 0xff00, v20
	v_and_b32_e32 v24, 0xff0000, v20
	v_and_b32_e32 v20, 0xff000000, v20
	v_or3_b32 v19, v19, 0, 0
	s_delay_alu instid0(VALU_DEP_4) | instskip(SKIP_1) | instid1(VALU_DEP_2)
	v_or_b32_e32 v22, v22, v23
	v_add_nc_u32_e32 v23, -8, v21
	v_or3_b32 v20, v22, v24, v20
.LBB2_47:                               ;   in Loop: Header=BB2_31 Depth=1
	s_or_b32 exec_lo, exec_lo, s0
                                        ; implicit-def: $sgpr1
	s_delay_alu instid0(SALU_CYCLE_1) | instskip(NEXT) | instid1(VALU_DEP_1)
	s_mov_b32 s0, exec_lo
	v_cmpx_gt_u32_e32 8, v23
	s_xor_b32 s4, exec_lo, s0
	s_cbranch_execz .LBB2_53
; %bb.48:                               ;   in Loop: Header=BB2_31 Depth=1
	v_mov_b32_e32 v21, 0
	v_mov_b32_e32 v22, 0
	s_mov_b32 s5, exec_lo
	v_cmpx_ne_u32_e32 0, v23
	s_cbranch_execz .LBB2_52
; %bb.49:                               ;   in Loop: Header=BB2_31 Depth=1
	v_mov_b32_e32 v21, 0
	v_mov_b32_e32 v22, 0
	s_mov_b64 s[0:1], 0
	s_mov_b32 s6, 0
	s_mov_b32 s7, 0
	.p2align	6
.LBB2_50:                               ;   Parent Loop BB2_31 Depth=1
                                        ; =>  This Inner Loop Header: Depth=2
	s_delay_alu instid0(SALU_CYCLE_1) | instskip(SKIP_1) | instid1(SALU_CYCLE_1)
	v_dual_mov_b32 v25, s11 :: v_dual_add_nc_u32 v24, s7, v15
	s_add_i32 s7, s7, 1
	v_cmp_eq_u32_e32 vcc_lo, s7, v23
	scratch_load_u8 v24, v24, off
	s_waitcnt vmcnt(0)
	v_and_b32_e32 v24, 0xffff, v24
	s_delay_alu instid0(VALU_DEP_1) | instskip(SKIP_3) | instid1(VALU_DEP_1)
	v_lshlrev_b64 v[24:25], s0, v[24:25]
	s_add_u32 s0, s0, 8
	s_addc_u32 s1, s1, 0
	s_or_b32 s6, vcc_lo, s6
	v_or_b32_e32 v22, v25, v22
	s_delay_alu instid0(VALU_DEP_2)
	v_or_b32_e32 v21, v24, v21
	s_and_not1_b32 exec_lo, exec_lo, s6
	s_cbranch_execnz .LBB2_50
; %bb.51:                               ;   in Loop: Header=BB2_31 Depth=1
	s_or_b32 exec_lo, exec_lo, s6
.LBB2_52:                               ;   in Loop: Header=BB2_31 Depth=1
	s_delay_alu instid0(SALU_CYCLE_1)
	s_or_b32 exec_lo, exec_lo, s5
	s_mov_b32 s1, 0
                                        ; implicit-def: $vgpr23
.LBB2_53:                               ;   in Loop: Header=BB2_31 Depth=1
	s_or_saveexec_b32 s0, s4
	v_mov_b32_e32 v25, s1
	s_xor_b32 exec_lo, exec_lo, s0
	s_cbranch_execz .LBB2_55
; %bb.54:                               ;   in Loop: Header=BB2_31 Depth=1
	scratch_load_b64 v[21:22], v15, off
	v_add_nc_u32_e32 v15, 8, v15
	s_waitcnt vmcnt(0)
	v_and_b32_e32 v24, 0xff, v22
	v_and_b32_e32 v25, 0xff00, v22
	;; [unrolled: 1-line block ×4, first 2 shown]
	v_or3_b32 v21, v21, 0, 0
	s_delay_alu instid0(VALU_DEP_4) | instskip(SKIP_1) | instid1(VALU_DEP_2)
	v_or_b32_e32 v24, v24, v25
	v_add_nc_u32_e32 v25, -8, v23
	v_or3_b32 v22, v24, v26, v22
.LBB2_55:                               ;   in Loop: Header=BB2_31 Depth=1
	s_or_b32 exec_lo, exec_lo, s0
                                        ; implicit-def: $vgpr23_vgpr24
                                        ; implicit-def: $sgpr1
	s_delay_alu instid0(SALU_CYCLE_1) | instskip(NEXT) | instid1(VALU_DEP_1)
	s_mov_b32 s0, exec_lo
	v_cmpx_gt_u32_e32 8, v25
	s_xor_b32 s4, exec_lo, s0
	s_cbranch_execz .LBB2_61
; %bb.56:                               ;   in Loop: Header=BB2_31 Depth=1
	v_mov_b32_e32 v23, 0
	v_mov_b32_e32 v24, 0
	s_mov_b32 s5, exec_lo
	v_cmpx_ne_u32_e32 0, v25
	s_cbranch_execz .LBB2_60
; %bb.57:                               ;   in Loop: Header=BB2_31 Depth=1
	v_mov_b32_e32 v23, 0
	v_mov_b32_e32 v24, 0
	s_mov_b64 s[0:1], 0
	s_mov_b32 s6, 0
	s_mov_b32 s7, 0
	.p2align	6
.LBB2_58:                               ;   Parent Loop BB2_31 Depth=1
                                        ; =>  This Inner Loop Header: Depth=2
	s_delay_alu instid0(SALU_CYCLE_1) | instskip(SKIP_1) | instid1(SALU_CYCLE_1)
	v_dual_mov_b32 v27, s11 :: v_dual_add_nc_u32 v26, s7, v15
	s_add_i32 s7, s7, 1
	v_cmp_eq_u32_e32 vcc_lo, s7, v25
	scratch_load_u8 v26, v26, off
	s_waitcnt vmcnt(0)
	v_and_b32_e32 v26, 0xffff, v26
	s_delay_alu instid0(VALU_DEP_1) | instskip(SKIP_3) | instid1(VALU_DEP_1)
	v_lshlrev_b64 v[26:27], s0, v[26:27]
	s_add_u32 s0, s0, 8
	s_addc_u32 s1, s1, 0
	s_or_b32 s6, vcc_lo, s6
	v_or_b32_e32 v24, v27, v24
	s_delay_alu instid0(VALU_DEP_2)
	v_or_b32_e32 v23, v26, v23
	s_and_not1_b32 exec_lo, exec_lo, s6
	s_cbranch_execnz .LBB2_58
; %bb.59:                               ;   in Loop: Header=BB2_31 Depth=1
	s_or_b32 exec_lo, exec_lo, s6
.LBB2_60:                               ;   in Loop: Header=BB2_31 Depth=1
	s_delay_alu instid0(SALU_CYCLE_1)
	s_or_b32 exec_lo, exec_lo, s5
	s_mov_b32 s1, 0
                                        ; implicit-def: $vgpr25
.LBB2_61:                               ;   in Loop: Header=BB2_31 Depth=1
	s_or_saveexec_b32 s0, s4
	v_mov_b32_e32 v27, s1
	s_xor_b32 exec_lo, exec_lo, s0
	s_cbranch_execz .LBB2_63
; %bb.62:                               ;   in Loop: Header=BB2_31 Depth=1
	scratch_load_b64 v[23:24], v15, off
	v_add_nc_u32_e32 v15, 8, v15
	s_waitcnt vmcnt(0)
	v_and_b32_e32 v26, 0xff, v24
	v_and_b32_e32 v27, 0xff00, v24
	;; [unrolled: 1-line block ×4, first 2 shown]
	v_or3_b32 v23, v23, 0, 0
	s_delay_alu instid0(VALU_DEP_4) | instskip(SKIP_1) | instid1(VALU_DEP_2)
	v_or_b32_e32 v26, v26, v27
	v_add_nc_u32_e32 v27, -8, v25
	v_or3_b32 v24, v26, v28, v24
.LBB2_63:                               ;   in Loop: Header=BB2_31 Depth=1
	s_or_b32 exec_lo, exec_lo, s0
                                        ; implicit-def: $sgpr1
	s_delay_alu instid0(SALU_CYCLE_1) | instskip(NEXT) | instid1(VALU_DEP_1)
	s_mov_b32 s0, exec_lo
	v_cmpx_gt_u32_e32 8, v27
	s_xor_b32 s4, exec_lo, s0
	s_cbranch_execz .LBB2_69
; %bb.64:                               ;   in Loop: Header=BB2_31 Depth=1
	v_mov_b32_e32 v25, 0
	v_mov_b32_e32 v26, 0
	s_mov_b32 s5, exec_lo
	v_cmpx_ne_u32_e32 0, v27
	s_cbranch_execz .LBB2_68
; %bb.65:                               ;   in Loop: Header=BB2_31 Depth=1
	v_mov_b32_e32 v25, 0
	v_mov_b32_e32 v26, 0
	s_mov_b64 s[0:1], 0
	s_mov_b32 s6, 0
	s_mov_b32 s7, 0
	.p2align	6
.LBB2_66:                               ;   Parent Loop BB2_31 Depth=1
                                        ; =>  This Inner Loop Header: Depth=2
	s_delay_alu instid0(SALU_CYCLE_1) | instskip(SKIP_1) | instid1(SALU_CYCLE_1)
	v_dual_mov_b32 v29, s11 :: v_dual_add_nc_u32 v28, s7, v15
	s_add_i32 s7, s7, 1
	v_cmp_eq_u32_e32 vcc_lo, s7, v27
	scratch_load_u8 v28, v28, off
	s_waitcnt vmcnt(0)
	v_and_b32_e32 v28, 0xffff, v28
	s_delay_alu instid0(VALU_DEP_1) | instskip(SKIP_3) | instid1(VALU_DEP_1)
	v_lshlrev_b64 v[28:29], s0, v[28:29]
	s_add_u32 s0, s0, 8
	s_addc_u32 s1, s1, 0
	s_or_b32 s6, vcc_lo, s6
	v_or_b32_e32 v26, v29, v26
	s_delay_alu instid0(VALU_DEP_2)
	v_or_b32_e32 v25, v28, v25
	s_and_not1_b32 exec_lo, exec_lo, s6
	s_cbranch_execnz .LBB2_66
; %bb.67:                               ;   in Loop: Header=BB2_31 Depth=1
	s_or_b32 exec_lo, exec_lo, s6
.LBB2_68:                               ;   in Loop: Header=BB2_31 Depth=1
	s_delay_alu instid0(SALU_CYCLE_1)
	s_or_b32 exec_lo, exec_lo, s5
	s_mov_b32 s1, 0
                                        ; implicit-def: $vgpr27
.LBB2_69:                               ;   in Loop: Header=BB2_31 Depth=1
	s_or_saveexec_b32 s0, s4
	v_mov_b32_e32 v29, s1
	s_xor_b32 exec_lo, exec_lo, s0
	s_cbranch_execz .LBB2_71
; %bb.70:                               ;   in Loop: Header=BB2_31 Depth=1
	scratch_load_b64 v[25:26], v15, off
	v_add_nc_u32_e32 v15, 8, v15
	s_waitcnt vmcnt(0)
	v_and_b32_e32 v28, 0xff, v26
	v_and_b32_e32 v29, 0xff00, v26
	;; [unrolled: 1-line block ×4, first 2 shown]
	v_or3_b32 v25, v25, 0, 0
	s_delay_alu instid0(VALU_DEP_4) | instskip(SKIP_1) | instid1(VALU_DEP_2)
	v_or_b32_e32 v28, v28, v29
	v_add_nc_u32_e32 v29, -8, v27
	v_or3_b32 v26, v28, v30, v26
.LBB2_71:                               ;   in Loop: Header=BB2_31 Depth=1
	s_or_b32 exec_lo, exec_lo, s0
                                        ; implicit-def: $vgpr27_vgpr28
                                        ; implicit-def: $sgpr1
	s_delay_alu instid0(SALU_CYCLE_1) | instskip(NEXT) | instid1(VALU_DEP_1)
	s_mov_b32 s0, exec_lo
	v_cmpx_gt_u32_e32 8, v29
	s_xor_b32 s4, exec_lo, s0
	s_cbranch_execz .LBB2_77
; %bb.72:                               ;   in Loop: Header=BB2_31 Depth=1
	v_mov_b32_e32 v27, 0
	v_mov_b32_e32 v28, 0
	s_mov_b32 s5, exec_lo
	v_cmpx_ne_u32_e32 0, v29
	s_cbranch_execz .LBB2_76
; %bb.73:                               ;   in Loop: Header=BB2_31 Depth=1
	v_mov_b32_e32 v27, 0
	v_mov_b32_e32 v28, 0
	s_mov_b64 s[0:1], 0
	s_mov_b32 s6, 0
	s_mov_b32 s7, 0
	.p2align	6
.LBB2_74:                               ;   Parent Loop BB2_31 Depth=1
                                        ; =>  This Inner Loop Header: Depth=2
	s_delay_alu instid0(SALU_CYCLE_1) | instskip(SKIP_1) | instid1(SALU_CYCLE_1)
	v_dual_mov_b32 v31, s11 :: v_dual_add_nc_u32 v30, s7, v15
	s_add_i32 s7, s7, 1
	v_cmp_eq_u32_e32 vcc_lo, s7, v29
	scratch_load_u8 v30, v30, off
	s_waitcnt vmcnt(0)
	v_and_b32_e32 v30, 0xffff, v30
	s_delay_alu instid0(VALU_DEP_1) | instskip(SKIP_3) | instid1(VALU_DEP_1)
	v_lshlrev_b64 v[30:31], s0, v[30:31]
	s_add_u32 s0, s0, 8
	s_addc_u32 s1, s1, 0
	s_or_b32 s6, vcc_lo, s6
	v_or_b32_e32 v28, v31, v28
	s_delay_alu instid0(VALU_DEP_2)
	v_or_b32_e32 v27, v30, v27
	s_and_not1_b32 exec_lo, exec_lo, s6
	s_cbranch_execnz .LBB2_74
; %bb.75:                               ;   in Loop: Header=BB2_31 Depth=1
	s_or_b32 exec_lo, exec_lo, s6
.LBB2_76:                               ;   in Loop: Header=BB2_31 Depth=1
	s_delay_alu instid0(SALU_CYCLE_1)
	s_or_b32 exec_lo, exec_lo, s5
	s_mov_b32 s1, 0
                                        ; implicit-def: $vgpr29
.LBB2_77:                               ;   in Loop: Header=BB2_31 Depth=1
	s_or_saveexec_b32 s0, s4
	v_mov_b32_e32 v31, s1
	s_xor_b32 exec_lo, exec_lo, s0
	s_cbranch_execz .LBB2_79
; %bb.78:                               ;   in Loop: Header=BB2_31 Depth=1
	scratch_load_b64 v[27:28], v15, off
	v_add_nc_u32_e32 v15, 8, v15
	s_waitcnt vmcnt(0)
	v_and_b32_e32 v30, 0xff, v28
	v_and_b32_e32 v31, 0xff00, v28
	;; [unrolled: 1-line block ×4, first 2 shown]
	v_or3_b32 v27, v27, 0, 0
	s_delay_alu instid0(VALU_DEP_4) | instskip(SKIP_1) | instid1(VALU_DEP_2)
	v_or_b32_e32 v30, v30, v31
	v_add_nc_u32_e32 v31, -8, v29
	v_or3_b32 v28, v30, v32, v28
.LBB2_79:                               ;   in Loop: Header=BB2_31 Depth=1
	s_or_b32 exec_lo, exec_lo, s0
	s_delay_alu instid0(SALU_CYCLE_1) | instskip(NEXT) | instid1(VALU_DEP_1)
	s_mov_b32 s0, exec_lo
	v_cmpx_gt_u32_e32 8, v31
	s_xor_b32 s4, exec_lo, s0
	s_cbranch_execz .LBB2_85
; %bb.80:                               ;   in Loop: Header=BB2_31 Depth=1
	v_mov_b32_e32 v29, 0
	v_mov_b32_e32 v30, 0
	s_mov_b32 s5, exec_lo
	v_cmpx_ne_u32_e32 0, v31
	s_cbranch_execz .LBB2_84
; %bb.81:                               ;   in Loop: Header=BB2_31 Depth=1
	v_mov_b32_e32 v29, 0
	v_mov_b32_e32 v30, 0
	s_mov_b64 s[0:1], 0
	s_mov_b32 s6, 0
	.p2align	6
.LBB2_82:                               ;   Parent Loop BB2_31 Depth=1
                                        ; =>  This Inner Loop Header: Depth=2
	scratch_load_u8 v32, v15, off
	v_mov_b32_e32 v33, s11
	v_add_nc_u32_e32 v31, -1, v31
	v_add_nc_u32_e32 v15, 1, v15
	s_delay_alu instid0(VALU_DEP_2) | instskip(SKIP_2) | instid1(VALU_DEP_1)
	v_cmp_eq_u32_e32 vcc_lo, 0, v31
	s_waitcnt vmcnt(0)
	v_and_b32_e32 v32, 0xffff, v32
	v_lshlrev_b64 v[32:33], s0, v[32:33]
	s_add_u32 s0, s0, 8
	s_addc_u32 s1, s1, 0
	s_or_b32 s6, vcc_lo, s6
	s_delay_alu instid0(VALU_DEP_1) | instskip(NEXT) | instid1(VALU_DEP_2)
	v_or_b32_e32 v30, v33, v30
	v_or_b32_e32 v29, v32, v29
	s_and_not1_b32 exec_lo, exec_lo, s6
	s_cbranch_execnz .LBB2_82
; %bb.83:                               ;   in Loop: Header=BB2_31 Depth=1
	s_or_b32 exec_lo, exec_lo, s6
.LBB2_84:                               ;   in Loop: Header=BB2_31 Depth=1
	s_delay_alu instid0(SALU_CYCLE_1)
	s_or_b32 exec_lo, exec_lo, s5
                                        ; implicit-def: $vgpr15
.LBB2_85:                               ;   in Loop: Header=BB2_31 Depth=1
	s_and_not1_saveexec_b32 s0, s4
	s_cbranch_execz .LBB2_87
; %bb.86:                               ;   in Loop: Header=BB2_31 Depth=1
	scratch_load_b64 v[29:30], v15, off
	s_waitcnt vmcnt(0)
	v_and_b32_e32 v15, 0xff, v30
	v_and_b32_e32 v31, 0xff00, v30
	;; [unrolled: 1-line block ×4, first 2 shown]
	v_or3_b32 v29, v29, 0, 0
	s_delay_alu instid0(VALU_DEP_4) | instskip(NEXT) | instid1(VALU_DEP_1)
	v_or_b32_e32 v15, v15, v31
	v_or3_b32 v30, v15, v32, v30
.LBB2_87:                               ;   in Loop: Header=BB2_31 Depth=1
	s_or_b32 exec_lo, exec_lo, s0
	v_readfirstlane_b32 s0, v49
	v_mov_b32_e32 v37, 0
	v_mov_b32_e32 v38, 0
	s_delay_alu instid0(VALU_DEP_3) | instskip(NEXT) | instid1(VALU_DEP_1)
	v_cmp_eq_u32_e64 s0, s0, v49
	s_and_saveexec_b32 s1, s0
	s_cbranch_execz .LBB2_93
; %bb.88:                               ;   in Loop: Header=BB2_31 Depth=1
	global_load_b64 v[33:34], v16, s[2:3] offset:24 glc
	s_waitcnt vmcnt(0)
	buffer_gl1_inv
	buffer_gl0_inv
	s_clause 0x1
	global_load_b64 v[31:32], v16, s[2:3] offset:40
	global_load_b64 v[37:38], v16, s[2:3]
	s_mov_b32 s4, exec_lo
	s_waitcnt vmcnt(1)
	v_and_b32_e32 v15, v32, v34
	v_and_b32_e32 v31, v31, v33
	s_delay_alu instid0(VALU_DEP_2) | instskip(NEXT) | instid1(VALU_DEP_2)
	v_mul_lo_u32 v15, v15, 24
	v_mul_hi_u32 v32, v31, 24
	v_mul_lo_u32 v31, v31, 24
	s_delay_alu instid0(VALU_DEP_2) | instskip(SKIP_1) | instid1(VALU_DEP_2)
	v_add_nc_u32_e32 v15, v32, v15
	s_waitcnt vmcnt(0)
	v_add_co_u32 v31, vcc_lo, v37, v31
	s_delay_alu instid0(VALU_DEP_2)
	v_add_co_ci_u32_e32 v32, vcc_lo, v38, v15, vcc_lo
	global_load_b64 v[31:32], v[31:32], off glc
	s_waitcnt vmcnt(0)
	global_atomic_cmpswap_b64 v[37:38], v16, v[31:34], s[2:3] offset:24 glc
	s_waitcnt vmcnt(0)
	buffer_gl1_inv
	buffer_gl0_inv
	v_cmpx_ne_u64_e64 v[37:38], v[33:34]
	s_cbranch_execz .LBB2_92
; %bb.89:                               ;   in Loop: Header=BB2_31 Depth=1
	s_mov_b32 s5, 0
	.p2align	6
.LBB2_90:                               ;   Parent Loop BB2_31 Depth=1
                                        ; =>  This Inner Loop Header: Depth=2
	s_sleep 1
	s_clause 0x1
	global_load_b64 v[31:32], v16, s[2:3] offset:40
	global_load_b64 v[51:52], v16, s[2:3]
	v_dual_mov_b32 v33, v37 :: v_dual_mov_b32 v34, v38
	s_waitcnt vmcnt(1)
	s_delay_alu instid0(VALU_DEP_1) | instskip(SKIP_1) | instid1(VALU_DEP_1)
	v_and_b32_e32 v15, v31, v33
	s_waitcnt vmcnt(0)
	v_mad_u64_u32 v[37:38], null, v15, 24, v[51:52]
	v_and_b32_e32 v51, v32, v34
	s_delay_alu instid0(VALU_DEP_2) | instskip(NEXT) | instid1(VALU_DEP_1)
	v_mov_b32_e32 v15, v38
	v_mad_u64_u32 v[31:32], null, v51, 24, v[15:16]
	s_delay_alu instid0(VALU_DEP_1)
	v_mov_b32_e32 v38, v31
	global_load_b64 v[31:32], v[37:38], off glc
	s_waitcnt vmcnt(0)
	global_atomic_cmpswap_b64 v[37:38], v16, v[31:34], s[2:3] offset:24 glc
	s_waitcnt vmcnt(0)
	buffer_gl1_inv
	buffer_gl0_inv
	v_cmp_eq_u64_e32 vcc_lo, v[37:38], v[33:34]
	s_or_b32 s5, vcc_lo, s5
	s_delay_alu instid0(SALU_CYCLE_1)
	s_and_not1_b32 exec_lo, exec_lo, s5
	s_cbranch_execnz .LBB2_90
; %bb.91:                               ;   in Loop: Header=BB2_31 Depth=1
	s_or_b32 exec_lo, exec_lo, s5
.LBB2_92:                               ;   in Loop: Header=BB2_31 Depth=1
	s_delay_alu instid0(SALU_CYCLE_1)
	s_or_b32 exec_lo, exec_lo, s4
.LBB2_93:                               ;   in Loop: Header=BB2_31 Depth=1
	s_delay_alu instid0(SALU_CYCLE_1)
	s_or_b32 exec_lo, exec_lo, s1
	s_clause 0x1
	global_load_b64 v[51:52], v16, s[2:3] offset:40
	global_load_b128 v[31:34], v16, s[2:3]
	v_readfirstlane_b32 s4, v37
	v_readfirstlane_b32 s5, v38
	s_mov_b32 s1, exec_lo
	s_waitcnt vmcnt(1)
	v_readfirstlane_b32 s6, v51
	v_readfirstlane_b32 s7, v52
	s_delay_alu instid0(VALU_DEP_1) | instskip(NEXT) | instid1(SALU_CYCLE_1)
	s_and_b64 s[6:7], s[4:5], s[6:7]
	s_mul_i32 s12, s7, 24
	s_mul_hi_u32 s13, s6, 24
	s_mul_i32 s14, s6, 24
	s_add_i32 s13, s13, s12
	s_waitcnt vmcnt(0)
	v_add_co_u32 v37, vcc_lo, v31, s14
	v_add_co_ci_u32_e32 v38, vcc_lo, s13, v32, vcc_lo
	s_and_saveexec_b32 s12, s0
	s_cbranch_execz .LBB2_95
; %bb.94:                               ;   in Loop: Header=BB2_31 Depth=1
	v_mov_b32_e32 v15, s1
	global_store_b128 v[37:38], v[15:18], off offset:8
.LBB2_95:                               ;   in Loop: Header=BB2_31 Depth=1
	s_or_b32 exec_lo, exec_lo, s12
	v_cmp_lt_u64_e32 vcc_lo, 56, v[0:1]
	v_or_b32_e32 v15, 0, v10
	v_or_b32_e32 v51, v9, v39
	v_lshl_add_u32 v52, v35, 2, 28
	s_lshl_b64 s[6:7], s[6:7], 12
	s_delay_alu instid0(SALU_CYCLE_1) | instskip(NEXT) | instid1(VALU_DEP_1)
	v_add_co_u32 v33, s1, v33, s6
	v_add_co_ci_u32_e64 v34, s1, s7, v34, s1
	s_delay_alu instid0(VALU_DEP_3) | instskip(SKIP_1) | instid1(VALU_DEP_4)
	v_dual_cndmask_b32 v10, v15, v10 :: v_dual_and_b32 v15, 0x1e0, v52
	v_cndmask_b32_e32 v9, v51, v9, vcc_lo
	v_readfirstlane_b32 s6, v33
	s_delay_alu instid0(VALU_DEP_4) | instskip(NEXT) | instid1(VALU_DEP_3)
	v_readfirstlane_b32 s7, v34
	v_and_or_b32 v9, 0xffffff1f, v9, v15
	s_clause 0x3
	global_store_b128 v48, v[9:12], s[6:7]
	global_store_b128 v48, v[19:22], s[6:7] offset:16
	global_store_b128 v48, v[23:26], s[6:7] offset:32
	;; [unrolled: 1-line block ×3, first 2 shown]
	s_and_saveexec_b32 s1, s0
	s_cbranch_execz .LBB2_103
; %bb.96:                               ;   in Loop: Header=BB2_31 Depth=1
	s_clause 0x1
	global_load_b64 v[23:24], v16, s[2:3] offset:32 glc
	global_load_b64 v[9:10], v16, s[2:3] offset:40
	v_dual_mov_b32 v21, s4 :: v_dual_mov_b32 v22, s5
	s_waitcnt vmcnt(0)
	v_readfirstlane_b32 s6, v9
	v_readfirstlane_b32 s7, v10
	s_delay_alu instid0(VALU_DEP_1) | instskip(NEXT) | instid1(SALU_CYCLE_1)
	s_and_b64 s[6:7], s[6:7], s[4:5]
	s_mul_i32 s7, s7, 24
	s_mul_hi_u32 s12, s6, 24
	s_mul_i32 s6, s6, 24
	s_add_i32 s12, s12, s7
	v_add_co_u32 v19, vcc_lo, v31, s6
	v_add_co_ci_u32_e32 v20, vcc_lo, s12, v32, vcc_lo
	s_mov_b32 s6, exec_lo
	global_store_b64 v[19:20], v[23:24], off
	s_waitcnt_vscnt null, 0x0
	global_atomic_cmpswap_b64 v[11:12], v16, v[21:24], s[2:3] offset:32 glc
	s_waitcnt vmcnt(0)
	v_cmpx_ne_u64_e64 v[11:12], v[23:24]
	s_cbranch_execz .LBB2_99
; %bb.97:                               ;   in Loop: Header=BB2_31 Depth=1
	s_mov_b32 s7, 0
.LBB2_98:                               ;   Parent Loop BB2_31 Depth=1
                                        ; =>  This Inner Loop Header: Depth=2
	v_dual_mov_b32 v9, s4 :: v_dual_mov_b32 v10, s5
	s_sleep 1
	global_store_b64 v[19:20], v[11:12], off
	s_waitcnt_vscnt null, 0x0
	global_atomic_cmpswap_b64 v[9:10], v16, v[9:12], s[2:3] offset:32 glc
	s_waitcnt vmcnt(0)
	v_cmp_eq_u64_e32 vcc_lo, v[9:10], v[11:12]
	v_dual_mov_b32 v12, v10 :: v_dual_mov_b32 v11, v9
	s_or_b32 s7, vcc_lo, s7
	s_delay_alu instid0(SALU_CYCLE_1)
	s_and_not1_b32 exec_lo, exec_lo, s7
	s_cbranch_execnz .LBB2_98
.LBB2_99:                               ;   in Loop: Header=BB2_31 Depth=1
	s_or_b32 exec_lo, exec_lo, s6
	global_load_b64 v[9:10], v16, s[2:3] offset:16
	s_mov_b32 s7, exec_lo
	s_mov_b32 s6, exec_lo
	v_mbcnt_lo_u32_b32 v11, s7, 0
	s_delay_alu instid0(VALU_DEP_1)
	v_cmpx_eq_u32_e32 0, v11
	s_cbranch_execz .LBB2_101
; %bb.100:                              ;   in Loop: Header=BB2_31 Depth=1
	s_bcnt1_i32_b32 s7, s7
	s_delay_alu instid0(SALU_CYCLE_1)
	v_mov_b32_e32 v15, s7
	s_waitcnt vmcnt(0)
	global_atomic_add_u64 v[9:10], v[15:16], off offset:8
.LBB2_101:                              ;   in Loop: Header=BB2_31 Depth=1
	s_or_b32 exec_lo, exec_lo, s6
	s_waitcnt vmcnt(0)
	global_load_b64 v[11:12], v[9:10], off offset:16
	s_waitcnt vmcnt(0)
	v_cmp_eq_u64_e32 vcc_lo, 0, v[11:12]
	s_cbranch_vccnz .LBB2_103
; %bb.102:                              ;   in Loop: Header=BB2_31 Depth=1
	global_load_b32 v15, v[9:10], off offset:24
	s_waitcnt vmcnt(0)
	v_and_b32_e32 v9, 0xffffff, v15
	s_waitcnt_vscnt null, 0x0
	global_store_b64 v[11:12], v[15:16], off
	v_readfirstlane_b32 m0, v9
	s_sendmsg sendmsg(MSG_INTERRUPT)
.LBB2_103:                              ;   in Loop: Header=BB2_31 Depth=1
	s_or_b32 exec_lo, exec_lo, s1
	v_add_co_u32 v9, vcc_lo, v33, v48
	v_add_co_ci_u32_e32 v10, vcc_lo, 0, v34, vcc_lo
	s_branch .LBB2_107
	.p2align	6
.LBB2_104:                              ;   in Loop: Header=BB2_107 Depth=2
	s_or_b32 exec_lo, exec_lo, s1
	s_delay_alu instid0(VALU_DEP_1) | instskip(NEXT) | instid1(VALU_DEP_1)
	v_readfirstlane_b32 s1, v11
	s_cmp_eq_u32 s1, 0
	s_cbranch_scc1 .LBB2_106
; %bb.105:                              ;   in Loop: Header=BB2_107 Depth=2
	s_sleep 1
	s_cbranch_execnz .LBB2_107
	s_branch .LBB2_109
	.p2align	6
.LBB2_106:                              ;   in Loop: Header=BB2_31 Depth=1
	s_branch .LBB2_109
.LBB2_107:                              ;   Parent Loop BB2_31 Depth=1
                                        ; =>  This Inner Loop Header: Depth=2
	v_mov_b32_e32 v11, 1
	s_and_saveexec_b32 s1, s0
	s_cbranch_execz .LBB2_104
; %bb.108:                              ;   in Loop: Header=BB2_107 Depth=2
	global_load_b32 v11, v[37:38], off offset:20 glc
	s_waitcnt vmcnt(0)
	buffer_gl1_inv
	buffer_gl0_inv
	v_and_b32_e32 v11, 1, v11
	s_branch .LBB2_104
.LBB2_109:                              ;   in Loop: Header=BB2_31 Depth=1
	global_load_b128 v[9:12], v[9:10], off
	s_and_saveexec_b32 s1, s0
	s_cbranch_execz .LBB2_30
; %bb.110:                              ;   in Loop: Header=BB2_31 Depth=1
	s_clause 0x2
	global_load_b64 v[11:12], v16, s[2:3] offset:40
	global_load_b64 v[23:24], v16, s[2:3] offset:24 glc
	global_load_b64 v[21:22], v16, s[2:3]
	s_waitcnt vmcnt(2)
	v_add_co_u32 v15, vcc_lo, v11, 1
	v_add_co_ci_u32_e32 v25, vcc_lo, 0, v12, vcc_lo
	s_delay_alu instid0(VALU_DEP_2) | instskip(NEXT) | instid1(VALU_DEP_2)
	v_add_co_u32 v19, vcc_lo, v15, s4
	v_add_co_ci_u32_e32 v20, vcc_lo, s5, v25, vcc_lo
	s_delay_alu instid0(VALU_DEP_1) | instskip(SKIP_1) | instid1(VALU_DEP_1)
	v_cmp_eq_u64_e32 vcc_lo, 0, v[19:20]
	v_dual_cndmask_b32 v20, v20, v25 :: v_dual_cndmask_b32 v19, v19, v15
	v_and_b32_e32 v12, v20, v12
	s_delay_alu instid0(VALU_DEP_2) | instskip(NEXT) | instid1(VALU_DEP_1)
	v_and_b32_e32 v11, v19, v11
	v_mul_hi_u32 v15, v11, 24
	v_mul_lo_u32 v11, v11, 24
	s_waitcnt vmcnt(0)
	s_delay_alu instid0(VALU_DEP_1) | instskip(SKIP_2) | instid1(VALU_DEP_1)
	v_add_co_u32 v11, vcc_lo, v21, v11
	v_mov_b32_e32 v21, v23
	v_mul_lo_u32 v12, v12, 24
	v_add_nc_u32_e32 v12, v15, v12
	s_delay_alu instid0(VALU_DEP_1)
	v_add_co_ci_u32_e32 v12, vcc_lo, v22, v12, vcc_lo
	v_mov_b32_e32 v22, v24
	global_store_b64 v[11:12], v[23:24], off
	s_waitcnt_vscnt null, 0x0
	global_atomic_cmpswap_b64 v[21:22], v16, v[19:22], s[2:3] offset:24 glc
	s_waitcnt vmcnt(0)
	v_cmp_ne_u64_e32 vcc_lo, v[21:22], v[23:24]
	s_and_b32 exec_lo, exec_lo, vcc_lo
	s_cbranch_execz .LBB2_30
; %bb.111:                              ;   in Loop: Header=BB2_31 Depth=1
	s_mov_b32 s0, 0
.LBB2_112:                              ;   Parent Loop BB2_31 Depth=1
                                        ; =>  This Inner Loop Header: Depth=2
	s_sleep 1
	global_store_b64 v[11:12], v[21:22], off
	s_waitcnt_vscnt null, 0x0
	global_atomic_cmpswap_b64 v[23:24], v16, v[19:22], s[2:3] offset:24 glc
	s_waitcnt vmcnt(0)
	v_cmp_eq_u64_e32 vcc_lo, v[23:24], v[21:22]
	v_dual_mov_b32 v21, v23 :: v_dual_mov_b32 v22, v24
	s_or_b32 s0, vcc_lo, s0
	s_delay_alu instid0(SALU_CYCLE_1)
	s_and_not1_b32 exec_lo, exec_lo, s0
	s_cbranch_execnz .LBB2_112
	s_branch .LBB2_30
.LBB2_113:
                                        ; implicit-def: $vgpr9_vgpr10
	s_cbranch_execnz .LBB2_115
	s_branch .LBB2_142
.LBB2_114:
	s_or_b32 exec_lo, exec_lo, s10
	s_branch .LBB2_142
.LBB2_115:
	v_readfirstlane_b32 s0, v49
	v_mov_b32_e32 v0, 0
	v_mov_b32_e32 v1, 0
	s_delay_alu instid0(VALU_DEP_3) | instskip(NEXT) | instid1(VALU_DEP_1)
	v_cmp_eq_u32_e64 s0, s0, v49
	s_and_saveexec_b32 s1, s0
	s_cbranch_execz .LBB2_121
; %bb.116:
	s_waitcnt vmcnt(0)
	v_mov_b32_e32 v9, 0
	s_mov_b32 s4, exec_lo
	global_load_b64 v[17:18], v9, s[2:3] offset:24 glc
	s_waitcnt vmcnt(0)
	buffer_gl1_inv
	buffer_gl0_inv
	s_clause 0x1
	global_load_b64 v[0:1], v9, s[2:3] offset:40
	global_load_b64 v[10:11], v9, s[2:3]
	s_waitcnt vmcnt(1)
	v_and_b32_e32 v0, v0, v17
	v_and_b32_e32 v1, v1, v18
	s_delay_alu instid0(VALU_DEP_2) | instskip(NEXT) | instid1(VALU_DEP_2)
	v_mul_hi_u32 v12, v0, 24
	v_mul_lo_u32 v1, v1, 24
	v_mul_lo_u32 v0, v0, 24
	s_delay_alu instid0(VALU_DEP_2) | instskip(SKIP_1) | instid1(VALU_DEP_2)
	v_add_nc_u32_e32 v1, v12, v1
	s_waitcnt vmcnt(0)
	v_add_co_u32 v0, vcc_lo, v10, v0
	s_delay_alu instid0(VALU_DEP_2)
	v_add_co_ci_u32_e32 v1, vcc_lo, v11, v1, vcc_lo
	global_load_b64 v[15:16], v[0:1], off glc
	s_waitcnt vmcnt(0)
	global_atomic_cmpswap_b64 v[0:1], v9, v[15:18], s[2:3] offset:24 glc
	s_waitcnt vmcnt(0)
	buffer_gl1_inv
	buffer_gl0_inv
	v_cmpx_ne_u64_e64 v[0:1], v[17:18]
	s_cbranch_execz .LBB2_120
; %bb.117:
	s_mov_b32 s5, 0
	.p2align	6
.LBB2_118:                              ; =>This Inner Loop Header: Depth=1
	s_sleep 1
	s_clause 0x1
	global_load_b64 v[10:11], v9, s[2:3] offset:40
	global_load_b64 v[15:16], v9, s[2:3]
	v_dual_mov_b32 v18, v1 :: v_dual_mov_b32 v17, v0
	s_waitcnt vmcnt(1)
	s_delay_alu instid0(VALU_DEP_1) | instskip(NEXT) | instid1(VALU_DEP_2)
	v_and_b32_e32 v10, v10, v17
	v_and_b32_e32 v12, v11, v18
	s_waitcnt vmcnt(0)
	s_delay_alu instid0(VALU_DEP_2) | instskip(NEXT) | instid1(VALU_DEP_1)
	v_mad_u64_u32 v[0:1], null, v10, 24, v[15:16]
	v_mad_u64_u32 v[10:11], null, v12, 24, v[1:2]
	s_delay_alu instid0(VALU_DEP_1)
	v_mov_b32_e32 v1, v10
	global_load_b64 v[15:16], v[0:1], off glc
	s_waitcnt vmcnt(0)
	global_atomic_cmpswap_b64 v[0:1], v9, v[15:18], s[2:3] offset:24 glc
	s_waitcnt vmcnt(0)
	buffer_gl1_inv
	buffer_gl0_inv
	v_cmp_eq_u64_e32 vcc_lo, v[0:1], v[17:18]
	s_or_b32 s5, vcc_lo, s5
	s_delay_alu instid0(SALU_CYCLE_1)
	s_and_not1_b32 exec_lo, exec_lo, s5
	s_cbranch_execnz .LBB2_118
; %bb.119:
	s_or_b32 exec_lo, exec_lo, s5
.LBB2_120:
	s_delay_alu instid0(SALU_CYCLE_1)
	s_or_b32 exec_lo, exec_lo, s4
.LBB2_121:
	s_delay_alu instid0(SALU_CYCLE_1)
	s_or_b32 exec_lo, exec_lo, s1
	v_mov_b32_e32 v15, 0
	v_readfirstlane_b32 s4, v0
	v_readfirstlane_b32 s5, v1
	s_mov_b32 s1, exec_lo
	s_clause 0x1
	global_load_b64 v[16:17], v15, s[2:3] offset:40
	global_load_b128 v[9:12], v15, s[2:3]
	s_waitcnt vmcnt(1)
	v_readfirstlane_b32 s6, v16
	v_readfirstlane_b32 s7, v17
	s_delay_alu instid0(VALU_DEP_1) | instskip(NEXT) | instid1(SALU_CYCLE_1)
	s_and_b64 s[6:7], s[4:5], s[6:7]
	s_mul_i32 s10, s7, 24
	s_mul_hi_u32 s11, s6, 24
	s_mul_i32 s12, s6, 24
	s_add_i32 s11, s11, s10
	s_waitcnt vmcnt(0)
	v_add_co_u32 v0, vcc_lo, v9, s12
	v_add_co_ci_u32_e32 v1, vcc_lo, s11, v10, vcc_lo
	s_and_saveexec_b32 s10, s0
	s_cbranch_execz .LBB2_123
; %bb.122:
	v_dual_mov_b32 v16, s1 :: v_dual_mov_b32 v17, v15
	v_dual_mov_b32 v18, 2 :: v_dual_mov_b32 v19, 1
	global_store_b128 v[0:1], v[16:19], off offset:8
.LBB2_123:
	s_or_b32 exec_lo, exec_lo, s10
	s_lshl_b64 s[6:7], s[6:7], 12
	s_mov_b32 s12, 0
	v_add_co_u32 v11, vcc_lo, v11, s6
	v_add_co_ci_u32_e32 v12, vcc_lo, s7, v12, vcc_lo
	s_mov_b32 s15, s12
	s_delay_alu instid0(VALU_DEP_2)
	v_add_co_u32 v17, vcc_lo, v11, v48
	s_mov_b32 s13, s12
	s_mov_b32 s14, s12
	v_and_or_b32 v13, 0xffffff1f, v13, 32
	v_mov_b32_e32 v16, v15
	v_readfirstlane_b32 s6, v11
	v_readfirstlane_b32 s7, v12
	v_dual_mov_b32 v22, s15 :: v_dual_mov_b32 v19, s12
	v_add_co_ci_u32_e32 v18, vcc_lo, 0, v12, vcc_lo
	v_dual_mov_b32 v21, s14 :: v_dual_mov_b32 v20, s13
	s_clause 0x3
	global_store_b128 v48, v[13:16], s[6:7]
	global_store_b128 v48, v[19:22], s[6:7] offset:16
	global_store_b128 v48, v[19:22], s[6:7] offset:32
	;; [unrolled: 1-line block ×3, first 2 shown]
	s_and_saveexec_b32 s1, s0
	s_cbranch_execz .LBB2_131
; %bb.124:
	v_dual_mov_b32 v15, 0 :: v_dual_mov_b32 v20, s5
	v_mov_b32_e32 v19, s4
	s_clause 0x1
	global_load_b64 v[21:22], v15, s[2:3] offset:32 glc
	global_load_b64 v[11:12], v15, s[2:3] offset:40
	s_waitcnt vmcnt(0)
	v_readfirstlane_b32 s6, v11
	v_readfirstlane_b32 s7, v12
	s_delay_alu instid0(VALU_DEP_1) | instskip(NEXT) | instid1(SALU_CYCLE_1)
	s_and_b64 s[6:7], s[6:7], s[4:5]
	s_mul_i32 s7, s7, 24
	s_mul_hi_u32 s10, s6, 24
	s_mul_i32 s6, s6, 24
	s_add_i32 s10, s10, s7
	v_add_co_u32 v13, vcc_lo, v9, s6
	v_add_co_ci_u32_e32 v14, vcc_lo, s10, v10, vcc_lo
	s_mov_b32 s6, exec_lo
	global_store_b64 v[13:14], v[21:22], off
	s_waitcnt_vscnt null, 0x0
	global_atomic_cmpswap_b64 v[11:12], v15, v[19:22], s[2:3] offset:32 glc
	s_waitcnt vmcnt(0)
	v_cmpx_ne_u64_e64 v[11:12], v[21:22]
	s_cbranch_execz .LBB2_127
; %bb.125:
	s_mov_b32 s7, 0
.LBB2_126:                              ; =>This Inner Loop Header: Depth=1
	v_dual_mov_b32 v9, s4 :: v_dual_mov_b32 v10, s5
	s_sleep 1
	global_store_b64 v[13:14], v[11:12], off
	s_waitcnt_vscnt null, 0x0
	global_atomic_cmpswap_b64 v[9:10], v15, v[9:12], s[2:3] offset:32 glc
	s_waitcnt vmcnt(0)
	v_cmp_eq_u64_e32 vcc_lo, v[9:10], v[11:12]
	v_dual_mov_b32 v12, v10 :: v_dual_mov_b32 v11, v9
	s_or_b32 s7, vcc_lo, s7
	s_delay_alu instid0(SALU_CYCLE_1)
	s_and_not1_b32 exec_lo, exec_lo, s7
	s_cbranch_execnz .LBB2_126
.LBB2_127:
	s_or_b32 exec_lo, exec_lo, s6
	v_mov_b32_e32 v12, 0
	s_mov_b32 s7, exec_lo
	s_mov_b32 s6, exec_lo
	v_mbcnt_lo_u32_b32 v11, s7, 0
	global_load_b64 v[9:10], v12, s[2:3] offset:16
	v_cmpx_eq_u32_e32 0, v11
	s_cbranch_execz .LBB2_129
; %bb.128:
	s_bcnt1_i32_b32 s7, s7
	s_delay_alu instid0(SALU_CYCLE_1)
	v_mov_b32_e32 v11, s7
	s_waitcnt vmcnt(0)
	global_atomic_add_u64 v[9:10], v[11:12], off offset:8
.LBB2_129:
	s_or_b32 exec_lo, exec_lo, s6
	s_waitcnt vmcnt(0)
	global_load_b64 v[11:12], v[9:10], off offset:16
	s_waitcnt vmcnt(0)
	v_cmp_eq_u64_e32 vcc_lo, 0, v[11:12]
	s_cbranch_vccnz .LBB2_131
; %bb.130:
	global_load_b32 v9, v[9:10], off offset:24
	s_waitcnt vmcnt(0)
	v_dual_mov_b32 v10, 0 :: v_dual_and_b32 v13, 0xffffff, v9
	s_waitcnt_vscnt null, 0x0
	global_store_b64 v[11:12], v[9:10], off
	v_readfirstlane_b32 m0, v13
	s_sendmsg sendmsg(MSG_INTERRUPT)
.LBB2_131:
	s_or_b32 exec_lo, exec_lo, s1
	s_branch .LBB2_135
	.p2align	6
.LBB2_132:                              ;   in Loop: Header=BB2_135 Depth=1
	s_or_b32 exec_lo, exec_lo, s1
	s_delay_alu instid0(VALU_DEP_1) | instskip(NEXT) | instid1(VALU_DEP_1)
	v_readfirstlane_b32 s1, v9
	s_cmp_eq_u32 s1, 0
	s_cbranch_scc1 .LBB2_134
; %bb.133:                              ;   in Loop: Header=BB2_135 Depth=1
	s_sleep 1
	s_cbranch_execnz .LBB2_135
	s_branch .LBB2_137
	.p2align	6
.LBB2_134:
	s_branch .LBB2_137
.LBB2_135:                              ; =>This Inner Loop Header: Depth=1
	v_mov_b32_e32 v9, 1
	s_and_saveexec_b32 s1, s0
	s_cbranch_execz .LBB2_132
; %bb.136:                              ;   in Loop: Header=BB2_135 Depth=1
	global_load_b32 v9, v[0:1], off offset:20 glc
	s_waitcnt vmcnt(0)
	buffer_gl1_inv
	buffer_gl0_inv
	v_and_b32_e32 v9, 1, v9
	s_branch .LBB2_132
.LBB2_137:
	global_load_b64 v[9:10], v[17:18], off
	s_and_saveexec_b32 s1, s0
	s_cbranch_execz .LBB2_141
; %bb.138:
	v_mov_b32_e32 v15, 0
	s_clause 0x2
	global_load_b64 v[0:1], v15, s[2:3] offset:40
	global_load_b64 v[16:17], v15, s[2:3] offset:24 glc
	global_load_b64 v[13:14], v15, s[2:3]
	s_waitcnt vmcnt(2)
	v_add_co_u32 v18, vcc_lo, v0, 1
	v_add_co_ci_u32_e32 v19, vcc_lo, 0, v1, vcc_lo
	s_delay_alu instid0(VALU_DEP_2) | instskip(NEXT) | instid1(VALU_DEP_2)
	v_add_co_u32 v11, vcc_lo, v18, s4
	v_add_co_ci_u32_e32 v12, vcc_lo, s5, v19, vcc_lo
	s_delay_alu instid0(VALU_DEP_1) | instskip(SKIP_1) | instid1(VALU_DEP_1)
	v_cmp_eq_u64_e32 vcc_lo, 0, v[11:12]
	v_dual_cndmask_b32 v12, v12, v19 :: v_dual_cndmask_b32 v11, v11, v18
	v_and_b32_e32 v1, v12, v1
	s_delay_alu instid0(VALU_DEP_2) | instskip(NEXT) | instid1(VALU_DEP_2)
	v_and_b32_e32 v0, v11, v0
	v_mul_lo_u32 v1, v1, 24
	s_delay_alu instid0(VALU_DEP_2) | instskip(SKIP_1) | instid1(VALU_DEP_2)
	v_mul_hi_u32 v18, v0, 24
	v_mul_lo_u32 v0, v0, 24
	v_add_nc_u32_e32 v1, v18, v1
	s_waitcnt vmcnt(0)
	s_delay_alu instid0(VALU_DEP_2) | instskip(SKIP_1) | instid1(VALU_DEP_3)
	v_add_co_u32 v0, vcc_lo, v13, v0
	v_mov_b32_e32 v13, v16
	v_add_co_ci_u32_e32 v1, vcc_lo, v14, v1, vcc_lo
	v_mov_b32_e32 v14, v17
	global_store_b64 v[0:1], v[16:17], off
	s_waitcnt_vscnt null, 0x0
	global_atomic_cmpswap_b64 v[13:14], v15, v[11:14], s[2:3] offset:24 glc
	s_waitcnt vmcnt(0)
	v_cmp_ne_u64_e32 vcc_lo, v[13:14], v[16:17]
	s_and_b32 exec_lo, exec_lo, vcc_lo
	s_cbranch_execz .LBB2_141
; %bb.139:
	s_mov_b32 s0, 0
.LBB2_140:                              ; =>This Inner Loop Header: Depth=1
	s_sleep 1
	global_store_b64 v[0:1], v[13:14], off
	s_waitcnt_vscnt null, 0x0
	global_atomic_cmpswap_b64 v[16:17], v15, v[11:14], s[2:3] offset:24 glc
	s_waitcnt vmcnt(0)
	v_cmp_eq_u64_e32 vcc_lo, v[16:17], v[13:14]
	v_dual_mov_b32 v13, v16 :: v_dual_mov_b32 v14, v17
	s_or_b32 s0, vcc_lo, s0
	s_delay_alu instid0(SALU_CYCLE_1)
	s_and_not1_b32 exec_lo, exec_lo, s0
	s_cbranch_execnz .LBB2_140
.LBB2_141:
	s_or_b32 exec_lo, exec_lo, s1
.LBB2_142:
	s_waitcnt vmcnt(0)
	v_dual_mov_b32 v12, v3 :: v_dual_mov_b32 v11, v2
	s_mov_b32 s0, 0
.LBB2_143:                              ; =>This Inner Loop Header: Depth=1
	flat_load_u8 v13, v[11:12]
	v_add_co_u32 v0, vcc_lo, v11, 1
	v_add_co_ci_u32_e32 v1, vcc_lo, 0, v12, vcc_lo
	s_delay_alu instid0(VALU_DEP_1) | instskip(SKIP_3) | instid1(SALU_CYCLE_1)
	v_dual_mov_b32 v12, v1 :: v_dual_mov_b32 v11, v0
	s_waitcnt vmcnt(0) lgkmcnt(0)
	v_cmp_eq_u16_e32 vcc_lo, 0, v13
	s_or_b32 s0, vcc_lo, s0
	s_and_not1_b32 exec_lo, exec_lo, s0
	s_cbranch_execnz .LBB2_143
; %bb.144:
	s_or_b32 exec_lo, exec_lo, s0
	s_delay_alu instid0(SALU_CYCLE_1)
	s_mov_b32 s0, exec_lo
	v_cmpx_ne_u64_e32 0, v[2:3]
	s_xor_b32 s10, exec_lo, s0
	s_cbranch_execz .LBB2_230
; %bb.145:
	v_sub_nc_u32_e32 v0, v0, v2
	v_dual_mov_b32 v13, 0 :: v_dual_and_b32 v50, 2, v9
	v_dual_mov_b32 v14, 2 :: v_dual_and_b32 v9, -3, v9
	s_delay_alu instid0(VALU_DEP_3)
	v_ashrrev_i32_e32 v1, 31, v0
	v_mov_b32_e32 v15, 1
	s_mov_b32 s12, 0
	s_mov_b32 s11, 0
	s_branch .LBB2_147
.LBB2_146:                              ;   in Loop: Header=BB2_147 Depth=1
	s_or_b32 exec_lo, exec_lo, s1
	v_sub_co_u32 v0, vcc_lo, v0, v36
	v_sub_co_ci_u32_e32 v1, vcc_lo, v1, v37, vcc_lo
	v_add_co_u32 v2, s0, v2, v36
	s_delay_alu instid0(VALU_DEP_1) | instskip(NEXT) | instid1(VALU_DEP_3)
	v_add_co_ci_u32_e64 v3, s0, v3, v37, s0
	v_cmp_eq_u64_e32 vcc_lo, 0, v[0:1]
	s_or_b32 s11, vcc_lo, s11
	s_delay_alu instid0(SALU_CYCLE_1)
	s_and_not1_b32 exec_lo, exec_lo, s11
	s_cbranch_execz .LBB2_229
.LBB2_147:                              ; =>This Loop Header: Depth=1
                                        ;     Child Loop BB2_150 Depth 2
                                        ;     Child Loop BB2_158 Depth 2
	;; [unrolled: 1-line block ×11, first 2 shown]
	v_cmp_gt_u64_e32 vcc_lo, 56, v[0:1]
	s_mov_b32 s1, exec_lo
                                        ; implicit-def: $vgpr18_vgpr19
                                        ; implicit-def: $sgpr4
	v_dual_cndmask_b32 v37, 0, v1 :: v_dual_cndmask_b32 v36, 56, v0
	v_cmpx_gt_u64_e32 8, v[0:1]
	s_xor_b32 s1, exec_lo, s1
	s_cbranch_execz .LBB2_153
; %bb.148:                              ;   in Loop: Header=BB2_147 Depth=1
	v_mov_b32_e32 v18, 0
	v_mov_b32_e32 v19, 0
	s_mov_b64 s[4:5], 0
	s_mov_b32 s6, exec_lo
	v_cmpx_ne_u64_e32 0, v[0:1]
	s_cbranch_execz .LBB2_152
; %bb.149:                              ;   in Loop: Header=BB2_147 Depth=1
	s_waitcnt vmcnt(0)
	v_lshlrev_b64 v[11:12], 3, v[36:37]
	v_dual_mov_b32 v18, 0 :: v_dual_mov_b32 v17, v3
	v_dual_mov_b32 v19, 0 :: v_dual_mov_b32 v16, v2
	s_mov_b32 s7, 0
	.p2align	6
.LBB2_150:                              ;   Parent Loop BB2_147 Depth=1
                                        ; =>  This Inner Loop Header: Depth=2
	flat_load_u8 v12, v[16:17]
	v_mov_b32_e32 v21, s12
	v_add_co_u32 v16, vcc_lo, v16, 1
	v_add_co_ci_u32_e32 v17, vcc_lo, 0, v17, vcc_lo
	s_waitcnt vmcnt(0) lgkmcnt(0)
	v_and_b32_e32 v20, 0xffff, v12
	s_delay_alu instid0(VALU_DEP_1) | instskip(SKIP_3) | instid1(VALU_DEP_2)
	v_lshlrev_b64 v[20:21], s4, v[20:21]
	s_add_u32 s4, s4, 8
	s_addc_u32 s5, s5, 0
	v_cmp_eq_u32_e64 s0, s4, v11
	v_or_b32_e32 v19, v21, v19
	s_delay_alu instid0(VALU_DEP_3) | instskip(NEXT) | instid1(VALU_DEP_3)
	v_or_b32_e32 v18, v20, v18
	s_or_b32 s7, s0, s7
	s_delay_alu instid0(SALU_CYCLE_1)
	s_and_not1_b32 exec_lo, exec_lo, s7
	s_cbranch_execnz .LBB2_150
; %bb.151:                              ;   in Loop: Header=BB2_147 Depth=1
	s_or_b32 exec_lo, exec_lo, s7
.LBB2_152:                              ;   in Loop: Header=BB2_147 Depth=1
	s_delay_alu instid0(SALU_CYCLE_1)
	s_or_b32 exec_lo, exec_lo, s6
	s_mov_b32 s4, 0
.LBB2_153:                              ;   in Loop: Header=BB2_147 Depth=1
	s_or_saveexec_b32 s0, s1
	s_waitcnt vmcnt(0)
	v_mov_b32_e32 v12, v3
	v_dual_mov_b32 v16, s4 :: v_dual_mov_b32 v11, v2
	s_xor_b32 exec_lo, exec_lo, s0
	s_cbranch_execz .LBB2_155
; %bb.154:                              ;   in Loop: Header=BB2_147 Depth=1
	flat_load_b64 v[11:12], v[2:3]
	s_waitcnt vmcnt(0) lgkmcnt(0)
	v_and_b32_e32 v16, 0xff, v12
	v_and_b32_e32 v17, 0xff00, v12
	v_and_b32_e32 v19, 0xff0000, v12
	v_and_b32_e32 v12, 0xff000000, v12
	v_or3_b32 v18, v11, 0, 0
	v_add_co_u32 v11, vcc_lo, v2, 8
	v_or_b32_e32 v17, v16, v17
	v_add_nc_u32_e32 v16, -8, v36
	s_delay_alu instid0(VALU_DEP_2)
	v_or3_b32 v19, v17, v19, v12
	v_add_co_ci_u32_e32 v12, vcc_lo, 0, v3, vcc_lo
.LBB2_155:                              ;   in Loop: Header=BB2_147 Depth=1
	s_or_b32 exec_lo, exec_lo, s0
                                        ; implicit-def: $vgpr20_vgpr21
                                        ; implicit-def: $sgpr1
	s_delay_alu instid0(SALU_CYCLE_1)
	s_mov_b32 s0, exec_lo
	v_cmpx_gt_u32_e32 8, v16
	s_xor_b32 s6, exec_lo, s0
	s_cbranch_execz .LBB2_161
; %bb.156:                              ;   in Loop: Header=BB2_147 Depth=1
	v_mov_b32_e32 v20, 0
	v_mov_b32_e32 v21, 0
	s_mov_b32 s7, exec_lo
	v_cmpx_ne_u32_e32 0, v16
	s_cbranch_execz .LBB2_160
; %bb.157:                              ;   in Loop: Header=BB2_147 Depth=1
	v_mov_b32_e32 v20, 0
	v_mov_b32_e32 v21, 0
	s_mov_b64 s[0:1], 0
	s_mov_b32 s13, 0
	s_mov_b64 s[4:5], 0
	.p2align	6
.LBB2_158:                              ;   Parent Loop BB2_147 Depth=1
                                        ; =>  This Inner Loop Header: Depth=2
	s_delay_alu instid0(SALU_CYCLE_1)
	v_add_co_u32 v22, vcc_lo, v11, s4
	v_add_co_ci_u32_e32 v23, vcc_lo, s5, v12, vcc_lo
	s_add_u32 s4, s4, 1
	s_addc_u32 s5, s5, 0
	v_cmp_eq_u32_e32 vcc_lo, s4, v16
	flat_load_u8 v17, v[22:23]
	s_waitcnt vmcnt(0) lgkmcnt(0)
	v_dual_mov_b32 v23, s12 :: v_dual_and_b32 v22, 0xffff, v17
	s_delay_alu instid0(VALU_DEP_1) | instskip(SKIP_3) | instid1(VALU_DEP_1)
	v_lshlrev_b64 v[22:23], s0, v[22:23]
	s_add_u32 s0, s0, 8
	s_addc_u32 s1, s1, 0
	s_or_b32 s13, vcc_lo, s13
	v_or_b32_e32 v21, v23, v21
	s_delay_alu instid0(VALU_DEP_2)
	v_or_b32_e32 v20, v22, v20
	s_and_not1_b32 exec_lo, exec_lo, s13
	s_cbranch_execnz .LBB2_158
; %bb.159:                              ;   in Loop: Header=BB2_147 Depth=1
	s_or_b32 exec_lo, exec_lo, s13
.LBB2_160:                              ;   in Loop: Header=BB2_147 Depth=1
	s_delay_alu instid0(SALU_CYCLE_1)
	s_or_b32 exec_lo, exec_lo, s7
	s_mov_b32 s1, 0
                                        ; implicit-def: $vgpr16
.LBB2_161:                              ;   in Loop: Header=BB2_147 Depth=1
	s_or_saveexec_b32 s0, s6
	v_mov_b32_e32 v17, s1
	s_xor_b32 exec_lo, exec_lo, s0
	s_cbranch_execz .LBB2_163
; %bb.162:                              ;   in Loop: Header=BB2_147 Depth=1
	flat_load_b64 v[20:21], v[11:12]
	v_add_co_u32 v11, vcc_lo, v11, 8
	v_add_co_ci_u32_e32 v12, vcc_lo, 0, v12, vcc_lo
	s_waitcnt vmcnt(0) lgkmcnt(0)
	v_and_b32_e32 v17, 0xff, v21
	v_and_b32_e32 v22, 0xff00, v21
	;; [unrolled: 1-line block ×4, first 2 shown]
	v_or3_b32 v20, v20, 0, 0
	s_delay_alu instid0(VALU_DEP_4) | instskip(SKIP_1) | instid1(VALU_DEP_2)
	v_or_b32_e32 v22, v17, v22
	v_add_nc_u32_e32 v17, -8, v16
	v_or3_b32 v21, v22, v23, v21
.LBB2_163:                              ;   in Loop: Header=BB2_147 Depth=1
	s_or_b32 exec_lo, exec_lo, s0
                                        ; implicit-def: $sgpr1
	s_delay_alu instid0(SALU_CYCLE_1) | instskip(NEXT) | instid1(VALU_DEP_1)
	s_mov_b32 s0, exec_lo
	v_cmpx_gt_u32_e32 8, v17
	s_xor_b32 s6, exec_lo, s0
	s_cbranch_execz .LBB2_169
; %bb.164:                              ;   in Loop: Header=BB2_147 Depth=1
	v_mov_b32_e32 v22, 0
	v_mov_b32_e32 v23, 0
	s_mov_b32 s7, exec_lo
	v_cmpx_ne_u32_e32 0, v17
	s_cbranch_execz .LBB2_168
; %bb.165:                              ;   in Loop: Header=BB2_147 Depth=1
	v_mov_b32_e32 v22, 0
	v_mov_b32_e32 v23, 0
	s_mov_b64 s[0:1], 0
	s_mov_b32 s13, 0
	s_mov_b64 s[4:5], 0
	.p2align	6
.LBB2_166:                              ;   Parent Loop BB2_147 Depth=1
                                        ; =>  This Inner Loop Header: Depth=2
	s_delay_alu instid0(SALU_CYCLE_1)
	v_add_co_u32 v24, vcc_lo, v11, s4
	v_add_co_ci_u32_e32 v25, vcc_lo, s5, v12, vcc_lo
	s_add_u32 s4, s4, 1
	s_addc_u32 s5, s5, 0
	v_cmp_eq_u32_e32 vcc_lo, s4, v17
	flat_load_u8 v16, v[24:25]
	s_waitcnt vmcnt(0) lgkmcnt(0)
	v_dual_mov_b32 v25, s12 :: v_dual_and_b32 v24, 0xffff, v16
	s_delay_alu instid0(VALU_DEP_1) | instskip(SKIP_3) | instid1(VALU_DEP_1)
	v_lshlrev_b64 v[24:25], s0, v[24:25]
	s_add_u32 s0, s0, 8
	s_addc_u32 s1, s1, 0
	s_or_b32 s13, vcc_lo, s13
	v_or_b32_e32 v23, v25, v23
	s_delay_alu instid0(VALU_DEP_2)
	v_or_b32_e32 v22, v24, v22
	s_and_not1_b32 exec_lo, exec_lo, s13
	s_cbranch_execnz .LBB2_166
; %bb.167:                              ;   in Loop: Header=BB2_147 Depth=1
	s_or_b32 exec_lo, exec_lo, s13
.LBB2_168:                              ;   in Loop: Header=BB2_147 Depth=1
	s_delay_alu instid0(SALU_CYCLE_1)
	s_or_b32 exec_lo, exec_lo, s7
	s_mov_b32 s1, 0
                                        ; implicit-def: $vgpr17
.LBB2_169:                              ;   in Loop: Header=BB2_147 Depth=1
	s_or_saveexec_b32 s0, s6
	v_mov_b32_e32 v16, s1
	s_xor_b32 exec_lo, exec_lo, s0
	s_cbranch_execz .LBB2_171
; %bb.170:                              ;   in Loop: Header=BB2_147 Depth=1
	flat_load_b64 v[22:23], v[11:12]
	v_add_co_u32 v11, vcc_lo, v11, 8
	v_add_co_ci_u32_e32 v12, vcc_lo, 0, v12, vcc_lo
	s_waitcnt vmcnt(0) lgkmcnt(0)
	v_and_b32_e32 v16, 0xff, v23
	v_and_b32_e32 v24, 0xff00, v23
	;; [unrolled: 1-line block ×4, first 2 shown]
	v_or3_b32 v22, v22, 0, 0
	s_delay_alu instid0(VALU_DEP_4) | instskip(SKIP_1) | instid1(VALU_DEP_2)
	v_or_b32_e32 v24, v16, v24
	v_add_nc_u32_e32 v16, -8, v17
	v_or3_b32 v23, v24, v25, v23
.LBB2_171:                              ;   in Loop: Header=BB2_147 Depth=1
	s_or_b32 exec_lo, exec_lo, s0
                                        ; implicit-def: $vgpr24_vgpr25
                                        ; implicit-def: $sgpr1
	s_delay_alu instid0(SALU_CYCLE_1) | instskip(NEXT) | instid1(VALU_DEP_1)
	s_mov_b32 s0, exec_lo
	v_cmpx_gt_u32_e32 8, v16
	s_xor_b32 s6, exec_lo, s0
	s_cbranch_execz .LBB2_177
; %bb.172:                              ;   in Loop: Header=BB2_147 Depth=1
	v_mov_b32_e32 v24, 0
	v_mov_b32_e32 v25, 0
	s_mov_b32 s7, exec_lo
	v_cmpx_ne_u32_e32 0, v16
	s_cbranch_execz .LBB2_176
; %bb.173:                              ;   in Loop: Header=BB2_147 Depth=1
	v_mov_b32_e32 v24, 0
	v_mov_b32_e32 v25, 0
	s_mov_b64 s[0:1], 0
	s_mov_b32 s13, 0
	s_mov_b64 s[4:5], 0
	.p2align	6
.LBB2_174:                              ;   Parent Loop BB2_147 Depth=1
                                        ; =>  This Inner Loop Header: Depth=2
	s_delay_alu instid0(SALU_CYCLE_1)
	v_add_co_u32 v26, vcc_lo, v11, s4
	v_add_co_ci_u32_e32 v27, vcc_lo, s5, v12, vcc_lo
	s_add_u32 s4, s4, 1
	s_addc_u32 s5, s5, 0
	v_cmp_eq_u32_e32 vcc_lo, s4, v16
	flat_load_u8 v17, v[26:27]
	s_waitcnt vmcnt(0) lgkmcnt(0)
	v_dual_mov_b32 v27, s12 :: v_dual_and_b32 v26, 0xffff, v17
	s_delay_alu instid0(VALU_DEP_1) | instskip(SKIP_3) | instid1(VALU_DEP_1)
	v_lshlrev_b64 v[26:27], s0, v[26:27]
	s_add_u32 s0, s0, 8
	s_addc_u32 s1, s1, 0
	s_or_b32 s13, vcc_lo, s13
	v_or_b32_e32 v25, v27, v25
	s_delay_alu instid0(VALU_DEP_2)
	v_or_b32_e32 v24, v26, v24
	s_and_not1_b32 exec_lo, exec_lo, s13
	s_cbranch_execnz .LBB2_174
; %bb.175:                              ;   in Loop: Header=BB2_147 Depth=1
	s_or_b32 exec_lo, exec_lo, s13
.LBB2_176:                              ;   in Loop: Header=BB2_147 Depth=1
	s_delay_alu instid0(SALU_CYCLE_1)
	s_or_b32 exec_lo, exec_lo, s7
	s_mov_b32 s1, 0
                                        ; implicit-def: $vgpr16
.LBB2_177:                              ;   in Loop: Header=BB2_147 Depth=1
	s_or_saveexec_b32 s0, s6
	v_mov_b32_e32 v17, s1
	s_xor_b32 exec_lo, exec_lo, s0
	s_cbranch_execz .LBB2_179
; %bb.178:                              ;   in Loop: Header=BB2_147 Depth=1
	flat_load_b64 v[24:25], v[11:12]
	v_add_co_u32 v11, vcc_lo, v11, 8
	v_add_co_ci_u32_e32 v12, vcc_lo, 0, v12, vcc_lo
	s_waitcnt vmcnt(0) lgkmcnt(0)
	v_and_b32_e32 v17, 0xff, v25
	v_and_b32_e32 v26, 0xff00, v25
	;; [unrolled: 1-line block ×4, first 2 shown]
	v_or3_b32 v24, v24, 0, 0
	s_delay_alu instid0(VALU_DEP_4) | instskip(SKIP_1) | instid1(VALU_DEP_2)
	v_or_b32_e32 v26, v17, v26
	v_add_nc_u32_e32 v17, -8, v16
	v_or3_b32 v25, v26, v27, v25
.LBB2_179:                              ;   in Loop: Header=BB2_147 Depth=1
	s_or_b32 exec_lo, exec_lo, s0
                                        ; implicit-def: $sgpr1
	s_delay_alu instid0(SALU_CYCLE_1) | instskip(NEXT) | instid1(VALU_DEP_1)
	s_mov_b32 s0, exec_lo
	v_cmpx_gt_u32_e32 8, v17
	s_xor_b32 s6, exec_lo, s0
	s_cbranch_execz .LBB2_185
; %bb.180:                              ;   in Loop: Header=BB2_147 Depth=1
	v_mov_b32_e32 v26, 0
	v_mov_b32_e32 v27, 0
	s_mov_b32 s7, exec_lo
	v_cmpx_ne_u32_e32 0, v17
	s_cbranch_execz .LBB2_184
; %bb.181:                              ;   in Loop: Header=BB2_147 Depth=1
	v_mov_b32_e32 v26, 0
	v_mov_b32_e32 v27, 0
	s_mov_b64 s[0:1], 0
	s_mov_b32 s13, 0
	s_mov_b64 s[4:5], 0
	.p2align	6
.LBB2_182:                              ;   Parent Loop BB2_147 Depth=1
                                        ; =>  This Inner Loop Header: Depth=2
	s_delay_alu instid0(SALU_CYCLE_1)
	v_add_co_u32 v28, vcc_lo, v11, s4
	v_add_co_ci_u32_e32 v29, vcc_lo, s5, v12, vcc_lo
	s_add_u32 s4, s4, 1
	s_addc_u32 s5, s5, 0
	v_cmp_eq_u32_e32 vcc_lo, s4, v17
	flat_load_u8 v16, v[28:29]
	s_waitcnt vmcnt(0) lgkmcnt(0)
	v_dual_mov_b32 v29, s12 :: v_dual_and_b32 v28, 0xffff, v16
	s_delay_alu instid0(VALU_DEP_1) | instskip(SKIP_3) | instid1(VALU_DEP_1)
	v_lshlrev_b64 v[28:29], s0, v[28:29]
	s_add_u32 s0, s0, 8
	s_addc_u32 s1, s1, 0
	s_or_b32 s13, vcc_lo, s13
	v_or_b32_e32 v27, v29, v27
	s_delay_alu instid0(VALU_DEP_2)
	v_or_b32_e32 v26, v28, v26
	s_and_not1_b32 exec_lo, exec_lo, s13
	s_cbranch_execnz .LBB2_182
; %bb.183:                              ;   in Loop: Header=BB2_147 Depth=1
	s_or_b32 exec_lo, exec_lo, s13
.LBB2_184:                              ;   in Loop: Header=BB2_147 Depth=1
	s_delay_alu instid0(SALU_CYCLE_1)
	s_or_b32 exec_lo, exec_lo, s7
	s_mov_b32 s1, 0
                                        ; implicit-def: $vgpr17
.LBB2_185:                              ;   in Loop: Header=BB2_147 Depth=1
	s_or_saveexec_b32 s0, s6
	v_mov_b32_e32 v16, s1
	s_xor_b32 exec_lo, exec_lo, s0
	s_cbranch_execz .LBB2_187
; %bb.186:                              ;   in Loop: Header=BB2_147 Depth=1
	flat_load_b64 v[26:27], v[11:12]
	v_add_co_u32 v11, vcc_lo, v11, 8
	v_add_co_ci_u32_e32 v12, vcc_lo, 0, v12, vcc_lo
	s_waitcnt vmcnt(0) lgkmcnt(0)
	v_and_b32_e32 v16, 0xff, v27
	v_and_b32_e32 v28, 0xff00, v27
	;; [unrolled: 1-line block ×4, first 2 shown]
	v_or3_b32 v26, v26, 0, 0
	s_delay_alu instid0(VALU_DEP_4) | instskip(SKIP_1) | instid1(VALU_DEP_2)
	v_or_b32_e32 v28, v16, v28
	v_add_nc_u32_e32 v16, -8, v17
	v_or3_b32 v27, v28, v29, v27
.LBB2_187:                              ;   in Loop: Header=BB2_147 Depth=1
	s_or_b32 exec_lo, exec_lo, s0
                                        ; implicit-def: $vgpr28_vgpr29
                                        ; implicit-def: $sgpr1
	s_delay_alu instid0(SALU_CYCLE_1) | instskip(NEXT) | instid1(VALU_DEP_1)
	s_mov_b32 s0, exec_lo
	v_cmpx_gt_u32_e32 8, v16
	s_xor_b32 s6, exec_lo, s0
	s_cbranch_execz .LBB2_193
; %bb.188:                              ;   in Loop: Header=BB2_147 Depth=1
	v_mov_b32_e32 v28, 0
	v_mov_b32_e32 v29, 0
	s_mov_b32 s7, exec_lo
	v_cmpx_ne_u32_e32 0, v16
	s_cbranch_execz .LBB2_192
; %bb.189:                              ;   in Loop: Header=BB2_147 Depth=1
	v_mov_b32_e32 v28, 0
	v_mov_b32_e32 v29, 0
	s_mov_b64 s[0:1], 0
	s_mov_b32 s13, 0
	s_mov_b64 s[4:5], 0
	.p2align	6
.LBB2_190:                              ;   Parent Loop BB2_147 Depth=1
                                        ; =>  This Inner Loop Header: Depth=2
	s_delay_alu instid0(SALU_CYCLE_1)
	v_add_co_u32 v30, vcc_lo, v11, s4
	v_add_co_ci_u32_e32 v31, vcc_lo, s5, v12, vcc_lo
	s_add_u32 s4, s4, 1
	s_addc_u32 s5, s5, 0
	v_cmp_eq_u32_e32 vcc_lo, s4, v16
	flat_load_u8 v17, v[30:31]
	s_waitcnt vmcnt(0) lgkmcnt(0)
	v_dual_mov_b32 v31, s12 :: v_dual_and_b32 v30, 0xffff, v17
	s_delay_alu instid0(VALU_DEP_1) | instskip(SKIP_3) | instid1(VALU_DEP_1)
	v_lshlrev_b64 v[30:31], s0, v[30:31]
	s_add_u32 s0, s0, 8
	s_addc_u32 s1, s1, 0
	s_or_b32 s13, vcc_lo, s13
	v_or_b32_e32 v29, v31, v29
	s_delay_alu instid0(VALU_DEP_2)
	v_or_b32_e32 v28, v30, v28
	s_and_not1_b32 exec_lo, exec_lo, s13
	s_cbranch_execnz .LBB2_190
; %bb.191:                              ;   in Loop: Header=BB2_147 Depth=1
	s_or_b32 exec_lo, exec_lo, s13
.LBB2_192:                              ;   in Loop: Header=BB2_147 Depth=1
	s_delay_alu instid0(SALU_CYCLE_1)
	s_or_b32 exec_lo, exec_lo, s7
	s_mov_b32 s1, 0
                                        ; implicit-def: $vgpr16
.LBB2_193:                              ;   in Loop: Header=BB2_147 Depth=1
	s_or_saveexec_b32 s0, s6
	v_mov_b32_e32 v17, s1
	s_xor_b32 exec_lo, exec_lo, s0
	s_cbranch_execz .LBB2_195
; %bb.194:                              ;   in Loop: Header=BB2_147 Depth=1
	flat_load_b64 v[28:29], v[11:12]
	v_add_co_u32 v11, vcc_lo, v11, 8
	v_add_co_ci_u32_e32 v12, vcc_lo, 0, v12, vcc_lo
	s_waitcnt vmcnt(0) lgkmcnt(0)
	v_and_b32_e32 v17, 0xff, v29
	v_and_b32_e32 v30, 0xff00, v29
	;; [unrolled: 1-line block ×4, first 2 shown]
	v_or3_b32 v28, v28, 0, 0
	s_delay_alu instid0(VALU_DEP_4) | instskip(SKIP_1) | instid1(VALU_DEP_2)
	v_or_b32_e32 v30, v17, v30
	v_add_nc_u32_e32 v17, -8, v16
	v_or3_b32 v29, v30, v31, v29
.LBB2_195:                              ;   in Loop: Header=BB2_147 Depth=1
	s_or_b32 exec_lo, exec_lo, s0
	s_delay_alu instid0(SALU_CYCLE_1) | instskip(NEXT) | instid1(VALU_DEP_1)
	s_mov_b32 s0, exec_lo
	v_cmpx_gt_u32_e32 8, v17
	s_xor_b32 s4, exec_lo, s0
	s_cbranch_execz .LBB2_201
; %bb.196:                              ;   in Loop: Header=BB2_147 Depth=1
	v_mov_b32_e32 v30, 0
	v_mov_b32_e32 v31, 0
	s_mov_b32 s5, exec_lo
	v_cmpx_ne_u32_e32 0, v17
	s_cbranch_execz .LBB2_200
; %bb.197:                              ;   in Loop: Header=BB2_147 Depth=1
	v_mov_b32_e32 v30, 0
	v_mov_b32_e32 v31, 0
	s_mov_b64 s[0:1], 0
	s_mov_b32 s6, 0
	.p2align	6
.LBB2_198:                              ;   Parent Loop BB2_147 Depth=1
                                        ; =>  This Inner Loop Header: Depth=2
	flat_load_u8 v16, v[11:12]
	v_mov_b32_e32 v33, s12
	v_add_nc_u32_e32 v17, -1, v17
	v_add_co_u32 v11, vcc_lo, v11, 1
	v_add_co_ci_u32_e32 v12, vcc_lo, 0, v12, vcc_lo
	s_delay_alu instid0(VALU_DEP_3) | instskip(SKIP_2) | instid1(VALU_DEP_1)
	v_cmp_eq_u32_e32 vcc_lo, 0, v17
	s_waitcnt vmcnt(0) lgkmcnt(0)
	v_and_b32_e32 v32, 0xffff, v16
	v_lshlrev_b64 v[32:33], s0, v[32:33]
	s_add_u32 s0, s0, 8
	s_addc_u32 s1, s1, 0
	s_or_b32 s6, vcc_lo, s6
	s_delay_alu instid0(VALU_DEP_1) | instskip(NEXT) | instid1(VALU_DEP_2)
	v_or_b32_e32 v31, v33, v31
	v_or_b32_e32 v30, v32, v30
	s_and_not1_b32 exec_lo, exec_lo, s6
	s_cbranch_execnz .LBB2_198
; %bb.199:                              ;   in Loop: Header=BB2_147 Depth=1
	s_or_b32 exec_lo, exec_lo, s6
.LBB2_200:                              ;   in Loop: Header=BB2_147 Depth=1
	s_delay_alu instid0(SALU_CYCLE_1)
	s_or_b32 exec_lo, exec_lo, s5
                                        ; implicit-def: $vgpr11_vgpr12
.LBB2_201:                              ;   in Loop: Header=BB2_147 Depth=1
	s_and_not1_saveexec_b32 s0, s4
	s_cbranch_execz .LBB2_203
; %bb.202:                              ;   in Loop: Header=BB2_147 Depth=1
	flat_load_b64 v[11:12], v[11:12]
	s_waitcnt vmcnt(0) lgkmcnt(0)
	v_and_b32_e32 v16, 0xff, v12
	v_and_b32_e32 v17, 0xff00, v12
	;; [unrolled: 1-line block ×4, first 2 shown]
	s_delay_alu instid0(VALU_DEP_3) | instskip(NEXT) | instid1(VALU_DEP_1)
	v_or_b32_e32 v16, v16, v17
	v_or3_b32 v31, v16, v30, v12
	v_or3_b32 v30, v11, 0, 0
.LBB2_203:                              ;   in Loop: Header=BB2_147 Depth=1
	s_or_b32 exec_lo, exec_lo, s0
	v_readfirstlane_b32 s0, v49
	v_mov_b32_e32 v11, 0
	v_mov_b32_e32 v12, 0
	s_delay_alu instid0(VALU_DEP_3) | instskip(NEXT) | instid1(VALU_DEP_1)
	v_cmp_eq_u32_e64 s0, s0, v49
	s_and_saveexec_b32 s1, s0
	s_cbranch_execz .LBB2_209
; %bb.204:                              ;   in Loop: Header=BB2_147 Depth=1
	global_load_b64 v[34:35], v13, s[2:3] offset:24 glc
	s_waitcnt vmcnt(0)
	buffer_gl1_inv
	buffer_gl0_inv
	s_clause 0x1
	global_load_b64 v[11:12], v13, s[2:3] offset:40
	global_load_b64 v[16:17], v13, s[2:3]
	s_mov_b32 s4, exec_lo
	s_waitcnt vmcnt(1)
	v_and_b32_e32 v12, v12, v35
	v_and_b32_e32 v11, v11, v34
	s_delay_alu instid0(VALU_DEP_2) | instskip(NEXT) | instid1(VALU_DEP_2)
	v_mul_lo_u32 v12, v12, 24
	v_mul_hi_u32 v32, v11, 24
	v_mul_lo_u32 v11, v11, 24
	s_delay_alu instid0(VALU_DEP_2) | instskip(SKIP_1) | instid1(VALU_DEP_2)
	v_add_nc_u32_e32 v12, v32, v12
	s_waitcnt vmcnt(0)
	v_add_co_u32 v11, vcc_lo, v16, v11
	s_delay_alu instid0(VALU_DEP_2)
	v_add_co_ci_u32_e32 v12, vcc_lo, v17, v12, vcc_lo
	global_load_b64 v[32:33], v[11:12], off glc
	s_waitcnt vmcnt(0)
	global_atomic_cmpswap_b64 v[11:12], v13, v[32:35], s[2:3] offset:24 glc
	s_waitcnt vmcnt(0)
	buffer_gl1_inv
	buffer_gl0_inv
	v_cmpx_ne_u64_e64 v[11:12], v[34:35]
	s_cbranch_execz .LBB2_208
; %bb.205:                              ;   in Loop: Header=BB2_147 Depth=1
	s_mov_b32 s5, 0
	.p2align	6
.LBB2_206:                              ;   Parent Loop BB2_147 Depth=1
                                        ; =>  This Inner Loop Header: Depth=2
	s_sleep 1
	s_clause 0x1
	global_load_b64 v[16:17], v13, s[2:3] offset:40
	global_load_b64 v[32:33], v13, s[2:3]
	v_dual_mov_b32 v35, v12 :: v_dual_mov_b32 v34, v11
	s_waitcnt vmcnt(1)
	s_delay_alu instid0(VALU_DEP_1) | instskip(SKIP_1) | instid1(VALU_DEP_1)
	v_and_b32_e32 v16, v16, v34
	s_waitcnt vmcnt(0)
	v_mad_u64_u32 v[11:12], null, v16, 24, v[32:33]
	v_and_b32_e32 v32, v17, v35
	s_delay_alu instid0(VALU_DEP_1) | instskip(NEXT) | instid1(VALU_DEP_1)
	v_mad_u64_u32 v[16:17], null, v32, 24, v[12:13]
	v_mov_b32_e32 v12, v16
	global_load_b64 v[32:33], v[11:12], off glc
	s_waitcnt vmcnt(0)
	global_atomic_cmpswap_b64 v[11:12], v13, v[32:35], s[2:3] offset:24 glc
	s_waitcnt vmcnt(0)
	buffer_gl1_inv
	buffer_gl0_inv
	v_cmp_eq_u64_e32 vcc_lo, v[11:12], v[34:35]
	s_or_b32 s5, vcc_lo, s5
	s_delay_alu instid0(SALU_CYCLE_1)
	s_and_not1_b32 exec_lo, exec_lo, s5
	s_cbranch_execnz .LBB2_206
; %bb.207:                              ;   in Loop: Header=BB2_147 Depth=1
	s_or_b32 exec_lo, exec_lo, s5
.LBB2_208:                              ;   in Loop: Header=BB2_147 Depth=1
	s_delay_alu instid0(SALU_CYCLE_1)
	s_or_b32 exec_lo, exec_lo, s4
.LBB2_209:                              ;   in Loop: Header=BB2_147 Depth=1
	s_delay_alu instid0(SALU_CYCLE_1)
	s_or_b32 exec_lo, exec_lo, s1
	s_clause 0x1
	global_load_b64 v[16:17], v13, s[2:3] offset:40
	global_load_b128 v[32:35], v13, s[2:3]
	v_readfirstlane_b32 s4, v11
	v_readfirstlane_b32 s5, v12
	s_mov_b32 s1, exec_lo
	s_waitcnt vmcnt(1)
	v_readfirstlane_b32 s6, v16
	v_readfirstlane_b32 s7, v17
	s_delay_alu instid0(VALU_DEP_1) | instskip(NEXT) | instid1(SALU_CYCLE_1)
	s_and_b64 s[6:7], s[4:5], s[6:7]
	s_mul_i32 s13, s7, 24
	s_mul_hi_u32 s14, s6, 24
	s_mul_i32 s15, s6, 24
	s_add_i32 s14, s14, s13
	s_waitcnt vmcnt(0)
	v_add_co_u32 v38, vcc_lo, v32, s15
	v_add_co_ci_u32_e32 v39, vcc_lo, s14, v33, vcc_lo
	s_and_saveexec_b32 s13, s0
	s_cbranch_execz .LBB2_211
; %bb.210:                              ;   in Loop: Header=BB2_147 Depth=1
	v_mov_b32_e32 v12, s1
	global_store_b128 v[38:39], v[12:15], off offset:8
.LBB2_211:                              ;   in Loop: Header=BB2_147 Depth=1
	s_or_b32 exec_lo, exec_lo, s13
	v_cmp_lt_u64_e32 vcc_lo, 56, v[0:1]
	v_or_b32_e32 v11, 0, v10
	v_or_b32_e32 v12, v9, v50
	v_lshl_add_u32 v16, v36, 2, 28
	s_lshl_b64 s[6:7], s[6:7], 12
	s_delay_alu instid0(SALU_CYCLE_1) | instskip(NEXT) | instid1(VALU_DEP_1)
	v_add_co_u32 v34, s1, v34, s6
	v_add_co_ci_u32_e64 v35, s1, s7, v35, s1
	s_delay_alu instid0(VALU_DEP_3) | instskip(SKIP_1) | instid1(VALU_DEP_4)
	v_dual_cndmask_b32 v17, v11, v10 :: v_dual_and_b32 v10, 0x1e0, v16
	v_cndmask_b32_e32 v9, v12, v9, vcc_lo
	v_readfirstlane_b32 s6, v34
	s_delay_alu instid0(VALU_DEP_4) | instskip(NEXT) | instid1(VALU_DEP_3)
	v_readfirstlane_b32 s7, v35
	v_and_or_b32 v16, 0xffffff1f, v9, v10
	s_clause 0x3
	global_store_b128 v48, v[16:19], s[6:7]
	global_store_b128 v48, v[20:23], s[6:7] offset:16
	global_store_b128 v48, v[24:27], s[6:7] offset:32
	;; [unrolled: 1-line block ×3, first 2 shown]
	s_and_saveexec_b32 s1, s0
	s_cbranch_execz .LBB2_219
; %bb.212:                              ;   in Loop: Header=BB2_147 Depth=1
	s_clause 0x1
	global_load_b64 v[20:21], v13, s[2:3] offset:32 glc
	global_load_b64 v[9:10], v13, s[2:3] offset:40
	v_dual_mov_b32 v18, s4 :: v_dual_mov_b32 v19, s5
	s_waitcnt vmcnt(0)
	v_readfirstlane_b32 s6, v9
	v_readfirstlane_b32 s7, v10
	s_delay_alu instid0(VALU_DEP_1) | instskip(NEXT) | instid1(SALU_CYCLE_1)
	s_and_b64 s[6:7], s[6:7], s[4:5]
	s_mul_i32 s7, s7, 24
	s_mul_hi_u32 s13, s6, 24
	s_mul_i32 s6, s6, 24
	s_add_i32 s13, s13, s7
	v_add_co_u32 v16, vcc_lo, v32, s6
	v_add_co_ci_u32_e32 v17, vcc_lo, s13, v33, vcc_lo
	s_mov_b32 s6, exec_lo
	global_store_b64 v[16:17], v[20:21], off
	s_waitcnt_vscnt null, 0x0
	global_atomic_cmpswap_b64 v[11:12], v13, v[18:21], s[2:3] offset:32 glc
	s_waitcnt vmcnt(0)
	v_cmpx_ne_u64_e64 v[11:12], v[20:21]
	s_cbranch_execz .LBB2_215
; %bb.213:                              ;   in Loop: Header=BB2_147 Depth=1
	s_mov_b32 s7, 0
.LBB2_214:                              ;   Parent Loop BB2_147 Depth=1
                                        ; =>  This Inner Loop Header: Depth=2
	v_dual_mov_b32 v9, s4 :: v_dual_mov_b32 v10, s5
	s_sleep 1
	global_store_b64 v[16:17], v[11:12], off
	s_waitcnt_vscnt null, 0x0
	global_atomic_cmpswap_b64 v[9:10], v13, v[9:12], s[2:3] offset:32 glc
	s_waitcnt vmcnt(0)
	v_cmp_eq_u64_e32 vcc_lo, v[9:10], v[11:12]
	v_dual_mov_b32 v12, v10 :: v_dual_mov_b32 v11, v9
	s_or_b32 s7, vcc_lo, s7
	s_delay_alu instid0(SALU_CYCLE_1)
	s_and_not1_b32 exec_lo, exec_lo, s7
	s_cbranch_execnz .LBB2_214
.LBB2_215:                              ;   in Loop: Header=BB2_147 Depth=1
	s_or_b32 exec_lo, exec_lo, s6
	global_load_b64 v[9:10], v13, s[2:3] offset:16
	s_mov_b32 s7, exec_lo
	s_mov_b32 s6, exec_lo
	v_mbcnt_lo_u32_b32 v11, s7, 0
	s_delay_alu instid0(VALU_DEP_1)
	v_cmpx_eq_u32_e32 0, v11
	s_cbranch_execz .LBB2_217
; %bb.216:                              ;   in Loop: Header=BB2_147 Depth=1
	s_bcnt1_i32_b32 s7, s7
	s_delay_alu instid0(SALU_CYCLE_1)
	v_mov_b32_e32 v12, s7
	s_waitcnt vmcnt(0)
	global_atomic_add_u64 v[9:10], v[12:13], off offset:8
.LBB2_217:                              ;   in Loop: Header=BB2_147 Depth=1
	s_or_b32 exec_lo, exec_lo, s6
	s_waitcnt vmcnt(0)
	global_load_b64 v[16:17], v[9:10], off offset:16
	s_waitcnt vmcnt(0)
	v_cmp_eq_u64_e32 vcc_lo, 0, v[16:17]
	s_cbranch_vccnz .LBB2_219
; %bb.218:                              ;   in Loop: Header=BB2_147 Depth=1
	global_load_b32 v12, v[9:10], off offset:24
	s_waitcnt vmcnt(0)
	v_and_b32_e32 v9, 0xffffff, v12
	s_waitcnt_vscnt null, 0x0
	global_store_b64 v[16:17], v[12:13], off
	v_readfirstlane_b32 m0, v9
	s_sendmsg sendmsg(MSG_INTERRUPT)
.LBB2_219:                              ;   in Loop: Header=BB2_147 Depth=1
	s_or_b32 exec_lo, exec_lo, s1
	v_add_co_u32 v9, vcc_lo, v34, v48
	v_add_co_ci_u32_e32 v10, vcc_lo, 0, v35, vcc_lo
	s_branch .LBB2_223
	.p2align	6
.LBB2_220:                              ;   in Loop: Header=BB2_223 Depth=2
	s_or_b32 exec_lo, exec_lo, s1
	s_delay_alu instid0(VALU_DEP_1) | instskip(NEXT) | instid1(VALU_DEP_1)
	v_readfirstlane_b32 s1, v11
	s_cmp_eq_u32 s1, 0
	s_cbranch_scc1 .LBB2_222
; %bb.221:                              ;   in Loop: Header=BB2_223 Depth=2
	s_sleep 1
	s_cbranch_execnz .LBB2_223
	s_branch .LBB2_225
	.p2align	6
.LBB2_222:                              ;   in Loop: Header=BB2_147 Depth=1
	s_branch .LBB2_225
.LBB2_223:                              ;   Parent Loop BB2_147 Depth=1
                                        ; =>  This Inner Loop Header: Depth=2
	v_mov_b32_e32 v11, 1
	s_and_saveexec_b32 s1, s0
	s_cbranch_execz .LBB2_220
; %bb.224:                              ;   in Loop: Header=BB2_223 Depth=2
	global_load_b32 v11, v[38:39], off offset:20 glc
	s_waitcnt vmcnt(0)
	buffer_gl1_inv
	buffer_gl0_inv
	v_and_b32_e32 v11, 1, v11
	s_branch .LBB2_220
.LBB2_225:                              ;   in Loop: Header=BB2_147 Depth=1
	global_load_b128 v[9:12], v[9:10], off
	s_and_saveexec_b32 s1, s0
	s_cbranch_execz .LBB2_146
; %bb.226:                              ;   in Loop: Header=BB2_147 Depth=1
	s_clause 0x2
	global_load_b64 v[11:12], v13, s[2:3] offset:40
	global_load_b64 v[20:21], v13, s[2:3] offset:24 glc
	global_load_b64 v[18:19], v13, s[2:3]
	s_waitcnt vmcnt(2)
	v_add_co_u32 v22, vcc_lo, v11, 1
	v_add_co_ci_u32_e32 v23, vcc_lo, 0, v12, vcc_lo
	s_delay_alu instid0(VALU_DEP_2) | instskip(NEXT) | instid1(VALU_DEP_2)
	v_add_co_u32 v16, vcc_lo, v22, s4
	v_add_co_ci_u32_e32 v17, vcc_lo, s5, v23, vcc_lo
	s_delay_alu instid0(VALU_DEP_1) | instskip(SKIP_1) | instid1(VALU_DEP_1)
	v_cmp_eq_u64_e32 vcc_lo, 0, v[16:17]
	v_dual_cndmask_b32 v17, v17, v23 :: v_dual_cndmask_b32 v16, v16, v22
	v_and_b32_e32 v12, v17, v12
	s_delay_alu instid0(VALU_DEP_2) | instskip(NEXT) | instid1(VALU_DEP_2)
	v_and_b32_e32 v11, v16, v11
	v_mul_lo_u32 v12, v12, 24
	s_delay_alu instid0(VALU_DEP_2) | instskip(SKIP_1) | instid1(VALU_DEP_2)
	v_mul_hi_u32 v22, v11, 24
	v_mul_lo_u32 v11, v11, 24
	v_add_nc_u32_e32 v12, v22, v12
	s_waitcnt vmcnt(0)
	s_delay_alu instid0(VALU_DEP_2) | instskip(SKIP_1) | instid1(VALU_DEP_3)
	v_add_co_u32 v11, vcc_lo, v18, v11
	v_mov_b32_e32 v18, v20
	v_add_co_ci_u32_e32 v12, vcc_lo, v19, v12, vcc_lo
	v_mov_b32_e32 v19, v21
	global_store_b64 v[11:12], v[20:21], off
	s_waitcnt_vscnt null, 0x0
	global_atomic_cmpswap_b64 v[18:19], v13, v[16:19], s[2:3] offset:24 glc
	s_waitcnt vmcnt(0)
	v_cmp_ne_u64_e32 vcc_lo, v[18:19], v[20:21]
	s_and_b32 exec_lo, exec_lo, vcc_lo
	s_cbranch_execz .LBB2_146
; %bb.227:                              ;   in Loop: Header=BB2_147 Depth=1
	s_mov_b32 s0, 0
.LBB2_228:                              ;   Parent Loop BB2_147 Depth=1
                                        ; =>  This Inner Loop Header: Depth=2
	s_sleep 1
	global_store_b64 v[11:12], v[18:19], off
	s_waitcnt_vscnt null, 0x0
	global_atomic_cmpswap_b64 v[20:21], v13, v[16:19], s[2:3] offset:24 glc
	s_waitcnt vmcnt(0)
	v_cmp_eq_u64_e32 vcc_lo, v[20:21], v[18:19]
	v_dual_mov_b32 v18, v20 :: v_dual_mov_b32 v19, v21
	s_or_b32 s0, vcc_lo, s0
	s_delay_alu instid0(SALU_CYCLE_1)
	s_and_not1_b32 exec_lo, exec_lo, s0
	s_cbranch_execnz .LBB2_228
	s_branch .LBB2_146
.LBB2_229:
	s_or_b32 exec_lo, exec_lo, s11
.LBB2_230:
	s_and_not1_saveexec_b32 s1, s10
	s_cbranch_execz .LBB2_258
; %bb.231:
	v_readfirstlane_b32 s0, v49
	s_waitcnt vmcnt(0)
	v_mov_b32_e32 v12, 0
	v_mov_b32_e32 v13, 0
	s_delay_alu instid0(VALU_DEP_3) | instskip(NEXT) | instid1(VALU_DEP_1)
	v_cmp_eq_u32_e64 s0, s0, v49
	s_and_saveexec_b32 s4, s0
	s_cbranch_execz .LBB2_237
; %bb.232:
	v_mov_b32_e32 v0, 0
	s_mov_b32 s5, exec_lo
	global_load_b64 v[14:15], v0, s[2:3] offset:24 glc
	s_waitcnt vmcnt(0)
	buffer_gl1_inv
	buffer_gl0_inv
	s_clause 0x1
	global_load_b64 v[1:2], v0, s[2:3] offset:40
	global_load_b64 v[11:12], v0, s[2:3]
	s_waitcnt vmcnt(1)
	v_and_b32_e32 v1, v1, v14
	v_and_b32_e32 v2, v2, v15
	s_delay_alu instid0(VALU_DEP_2) | instskip(NEXT) | instid1(VALU_DEP_2)
	v_mul_hi_u32 v3, v1, 24
	v_mul_lo_u32 v2, v2, 24
	v_mul_lo_u32 v1, v1, 24
	s_delay_alu instid0(VALU_DEP_2) | instskip(SKIP_1) | instid1(VALU_DEP_2)
	v_add_nc_u32_e32 v2, v3, v2
	s_waitcnt vmcnt(0)
	v_add_co_u32 v1, vcc_lo, v11, v1
	s_delay_alu instid0(VALU_DEP_2)
	v_add_co_ci_u32_e32 v2, vcc_lo, v12, v2, vcc_lo
	global_load_b64 v[12:13], v[1:2], off glc
	s_waitcnt vmcnt(0)
	global_atomic_cmpswap_b64 v[12:13], v0, v[12:15], s[2:3] offset:24 glc
	s_waitcnt vmcnt(0)
	buffer_gl1_inv
	buffer_gl0_inv
	v_cmpx_ne_u64_e64 v[12:13], v[14:15]
	s_cbranch_execz .LBB2_236
; %bb.233:
	s_mov_b32 s6, 0
	.p2align	6
.LBB2_234:                              ; =>This Inner Loop Header: Depth=1
	s_sleep 1
	s_clause 0x1
	global_load_b64 v[1:2], v0, s[2:3] offset:40
	global_load_b64 v[16:17], v0, s[2:3]
	v_dual_mov_b32 v15, v13 :: v_dual_mov_b32 v14, v12
	s_waitcnt vmcnt(1)
	s_delay_alu instid0(VALU_DEP_1) | instskip(NEXT) | instid1(VALU_DEP_2)
	v_and_b32_e32 v1, v1, v14
	v_and_b32_e32 v13, v2, v15
	s_waitcnt vmcnt(0)
	s_delay_alu instid0(VALU_DEP_2) | instskip(NEXT) | instid1(VALU_DEP_1)
	v_mad_u64_u32 v[11:12], null, v1, 24, v[16:17]
	v_mov_b32_e32 v1, v12
	s_delay_alu instid0(VALU_DEP_1) | instskip(NEXT) | instid1(VALU_DEP_1)
	v_mad_u64_u32 v[2:3], null, v13, 24, v[1:2]
	v_mov_b32_e32 v12, v2
	global_load_b64 v[12:13], v[11:12], off glc
	s_waitcnt vmcnt(0)
	global_atomic_cmpswap_b64 v[12:13], v0, v[12:15], s[2:3] offset:24 glc
	s_waitcnt vmcnt(0)
	buffer_gl1_inv
	buffer_gl0_inv
	v_cmp_eq_u64_e32 vcc_lo, v[12:13], v[14:15]
	s_or_b32 s6, vcc_lo, s6
	s_delay_alu instid0(SALU_CYCLE_1)
	s_and_not1_b32 exec_lo, exec_lo, s6
	s_cbranch_execnz .LBB2_234
; %bb.235:
	s_or_b32 exec_lo, exec_lo, s6
.LBB2_236:
	s_delay_alu instid0(SALU_CYCLE_1)
	s_or_b32 exec_lo, exec_lo, s5
.LBB2_237:
	s_delay_alu instid0(SALU_CYCLE_1)
	s_or_b32 exec_lo, exec_lo, s4
	v_mov_b32_e32 v11, 0
	v_readfirstlane_b32 s4, v12
	v_readfirstlane_b32 s5, v13
	s_mov_b32 s10, exec_lo
	s_clause 0x1
	global_load_b64 v[14:15], v11, s[2:3] offset:40
	global_load_b128 v[0:3], v11, s[2:3]
	s_waitcnt vmcnt(1)
	v_readfirstlane_b32 s6, v14
	v_readfirstlane_b32 s7, v15
	s_delay_alu instid0(VALU_DEP_1) | instskip(NEXT) | instid1(SALU_CYCLE_1)
	s_and_b64 s[6:7], s[4:5], s[6:7]
	s_mul_i32 s11, s7, 24
	s_mul_hi_u32 s12, s6, 24
	s_mul_i32 s13, s6, 24
	s_add_i32 s12, s12, s11
	s_waitcnt vmcnt(0)
	v_add_co_u32 v13, vcc_lo, v0, s13
	v_add_co_ci_u32_e32 v14, vcc_lo, s12, v1, vcc_lo
	s_and_saveexec_b32 s11, s0
	s_cbranch_execz .LBB2_239
; %bb.238:
	v_dual_mov_b32 v15, s10 :: v_dual_mov_b32 v16, v11
	v_dual_mov_b32 v17, 2 :: v_dual_mov_b32 v18, 1
	global_store_b128 v[13:14], v[15:18], off offset:8
.LBB2_239:
	s_or_b32 exec_lo, exec_lo, s11
	s_lshl_b64 s[6:7], s[6:7], 12
	s_mov_b32 s12, 0
	v_add_co_u32 v2, vcc_lo, v2, s6
	v_add_co_ci_u32_e32 v3, vcc_lo, s7, v3, vcc_lo
	s_mov_b32 s15, s12
	s_delay_alu instid0(VALU_DEP_2)
	v_add_co_u32 v15, vcc_lo, v2, v48
	s_mov_b32 s13, s12
	s_mov_b32 s14, s12
	v_and_or_b32 v9, 0xffffff1f, v9, 32
	v_mov_b32_e32 v12, v11
	v_readfirstlane_b32 s6, v2
	v_readfirstlane_b32 s7, v3
	v_dual_mov_b32 v20, s15 :: v_dual_mov_b32 v17, s12
	v_add_co_ci_u32_e32 v16, vcc_lo, 0, v3, vcc_lo
	v_dual_mov_b32 v19, s14 :: v_dual_mov_b32 v18, s13
	s_clause 0x3
	global_store_b128 v48, v[9:12], s[6:7]
	global_store_b128 v48, v[17:20], s[6:7] offset:16
	global_store_b128 v48, v[17:20], s[6:7] offset:32
	;; [unrolled: 1-line block ×3, first 2 shown]
	s_and_saveexec_b32 s6, s0
	s_cbranch_execz .LBB2_247
; %bb.240:
	v_dual_mov_b32 v11, 0 :: v_dual_mov_b32 v18, s5
	v_mov_b32_e32 v17, s4
	s_clause 0x1
	global_load_b64 v[19:20], v11, s[2:3] offset:32 glc
	global_load_b64 v[2:3], v11, s[2:3] offset:40
	s_waitcnt vmcnt(0)
	v_readfirstlane_b32 s10, v2
	v_readfirstlane_b32 s11, v3
	s_delay_alu instid0(VALU_DEP_1) | instskip(NEXT) | instid1(SALU_CYCLE_1)
	s_and_b64 s[10:11], s[10:11], s[4:5]
	s_mul_i32 s7, s11, 24
	s_mul_hi_u32 s11, s10, 24
	s_mul_i32 s10, s10, 24
	s_add_i32 s11, s11, s7
	v_add_co_u32 v9, vcc_lo, v0, s10
	v_add_co_ci_u32_e32 v10, vcc_lo, s11, v1, vcc_lo
	s_mov_b32 s7, exec_lo
	global_store_b64 v[9:10], v[19:20], off
	s_waitcnt_vscnt null, 0x0
	global_atomic_cmpswap_b64 v[2:3], v11, v[17:20], s[2:3] offset:32 glc
	s_waitcnt vmcnt(0)
	v_cmpx_ne_u64_e64 v[2:3], v[19:20]
	s_cbranch_execz .LBB2_243
; %bb.241:
	s_mov_b32 s10, 0
.LBB2_242:                              ; =>This Inner Loop Header: Depth=1
	v_dual_mov_b32 v0, s4 :: v_dual_mov_b32 v1, s5
	s_sleep 1
	global_store_b64 v[9:10], v[2:3], off
	s_waitcnt_vscnt null, 0x0
	global_atomic_cmpswap_b64 v[0:1], v11, v[0:3], s[2:3] offset:32 glc
	s_waitcnt vmcnt(0)
	v_cmp_eq_u64_e32 vcc_lo, v[0:1], v[2:3]
	v_dual_mov_b32 v3, v1 :: v_dual_mov_b32 v2, v0
	s_or_b32 s10, vcc_lo, s10
	s_delay_alu instid0(SALU_CYCLE_1)
	s_and_not1_b32 exec_lo, exec_lo, s10
	s_cbranch_execnz .LBB2_242
.LBB2_243:
	s_or_b32 exec_lo, exec_lo, s7
	v_mov_b32_e32 v3, 0
	s_mov_b32 s10, exec_lo
	s_mov_b32 s7, exec_lo
	v_mbcnt_lo_u32_b32 v2, s10, 0
	global_load_b64 v[0:1], v3, s[2:3] offset:16
	v_cmpx_eq_u32_e32 0, v2
	s_cbranch_execz .LBB2_245
; %bb.244:
	s_bcnt1_i32_b32 s10, s10
	s_delay_alu instid0(SALU_CYCLE_1)
	v_mov_b32_e32 v2, s10
	s_waitcnt vmcnt(0)
	global_atomic_add_u64 v[0:1], v[2:3], off offset:8
.LBB2_245:
	s_or_b32 exec_lo, exec_lo, s7
	s_waitcnt vmcnt(0)
	global_load_b64 v[2:3], v[0:1], off offset:16
	s_waitcnt vmcnt(0)
	v_cmp_eq_u64_e32 vcc_lo, 0, v[2:3]
	s_cbranch_vccnz .LBB2_247
; %bb.246:
	global_load_b32 v0, v[0:1], off offset:24
	v_mov_b32_e32 v1, 0
	s_waitcnt vmcnt(0)
	v_and_b32_e32 v9, 0xffffff, v0
	s_waitcnt_vscnt null, 0x0
	global_store_b64 v[2:3], v[0:1], off
	v_readfirstlane_b32 m0, v9
	s_sendmsg sendmsg(MSG_INTERRUPT)
.LBB2_247:
	s_or_b32 exec_lo, exec_lo, s6
	s_branch .LBB2_251
	.p2align	6
.LBB2_248:                              ;   in Loop: Header=BB2_251 Depth=1
	s_or_b32 exec_lo, exec_lo, s6
	s_delay_alu instid0(VALU_DEP_1) | instskip(NEXT) | instid1(VALU_DEP_1)
	v_readfirstlane_b32 s6, v0
	s_cmp_eq_u32 s6, 0
	s_cbranch_scc1 .LBB2_250
; %bb.249:                              ;   in Loop: Header=BB2_251 Depth=1
	s_sleep 1
	s_cbranch_execnz .LBB2_251
	s_branch .LBB2_253
	.p2align	6
.LBB2_250:
	s_branch .LBB2_253
.LBB2_251:                              ; =>This Inner Loop Header: Depth=1
	v_mov_b32_e32 v0, 1
	s_and_saveexec_b32 s6, s0
	s_cbranch_execz .LBB2_248
; %bb.252:                              ;   in Loop: Header=BB2_251 Depth=1
	global_load_b32 v0, v[13:14], off offset:20 glc
	s_waitcnt vmcnt(0)
	buffer_gl1_inv
	buffer_gl0_inv
	v_and_b32_e32 v0, 1, v0
	s_branch .LBB2_248
.LBB2_253:
	global_load_b64 v[9:10], v[15:16], off
	s_and_saveexec_b32 s6, s0
	s_cbranch_execz .LBB2_257
; %bb.254:
	v_mov_b32_e32 v13, 0
	s_clause 0x2
	global_load_b64 v[2:3], v13, s[2:3] offset:40
	global_load_b64 v[14:15], v13, s[2:3] offset:24 glc
	global_load_b64 v[11:12], v13, s[2:3]
	s_waitcnt vmcnt(2)
	v_add_co_u32 v16, vcc_lo, v2, 1
	v_add_co_ci_u32_e32 v17, vcc_lo, 0, v3, vcc_lo
	s_delay_alu instid0(VALU_DEP_2) | instskip(NEXT) | instid1(VALU_DEP_2)
	v_add_co_u32 v0, vcc_lo, v16, s4
	v_add_co_ci_u32_e32 v1, vcc_lo, s5, v17, vcc_lo
	s_delay_alu instid0(VALU_DEP_1) | instskip(SKIP_1) | instid1(VALU_DEP_1)
	v_cmp_eq_u64_e32 vcc_lo, 0, v[0:1]
	v_dual_cndmask_b32 v0, v0, v16 :: v_dual_cndmask_b32 v1, v1, v17
	v_and_b32_e32 v2, v0, v2
	s_delay_alu instid0(VALU_DEP_2) | instskip(NEXT) | instid1(VALU_DEP_2)
	v_and_b32_e32 v3, v1, v3
	v_mul_hi_u32 v16, v2, 24
	v_mul_lo_u32 v2, v2, 24
	s_waitcnt vmcnt(0)
	s_delay_alu instid0(VALU_DEP_1) | instskip(SKIP_2) | instid1(VALU_DEP_1)
	v_add_co_u32 v11, vcc_lo, v11, v2
	v_mov_b32_e32 v2, v14
	v_mul_lo_u32 v3, v3, 24
	v_add_nc_u32_e32 v3, v16, v3
	s_delay_alu instid0(VALU_DEP_1)
	v_add_co_ci_u32_e32 v12, vcc_lo, v12, v3, vcc_lo
	v_mov_b32_e32 v3, v15
	global_store_b64 v[11:12], v[14:15], off
	s_waitcnt_vscnt null, 0x0
	global_atomic_cmpswap_b64 v[2:3], v13, v[0:3], s[2:3] offset:24 glc
	s_waitcnt vmcnt(0)
	v_cmp_ne_u64_e32 vcc_lo, v[2:3], v[14:15]
	s_and_b32 exec_lo, exec_lo, vcc_lo
	s_cbranch_execz .LBB2_257
; %bb.255:
	s_mov_b32 s0, 0
.LBB2_256:                              ; =>This Inner Loop Header: Depth=1
	s_sleep 1
	global_store_b64 v[11:12], v[2:3], off
	s_waitcnt_vscnt null, 0x0
	global_atomic_cmpswap_b64 v[14:15], v13, v[0:3], s[2:3] offset:24 glc
	s_waitcnt vmcnt(0)
	v_cmp_eq_u64_e32 vcc_lo, v[14:15], v[2:3]
	v_dual_mov_b32 v2, v14 :: v_dual_mov_b32 v3, v15
	s_or_b32 s0, vcc_lo, s0
	s_delay_alu instid0(SALU_CYCLE_1)
	s_and_not1_b32 exec_lo, exec_lo, s0
	s_cbranch_execnz .LBB2_256
.LBB2_257:
	s_or_b32 exec_lo, exec_lo, s6
.LBB2_258:
	s_delay_alu instid0(SALU_CYCLE_1) | instskip(SKIP_3) | instid1(VALU_DEP_3)
	s_or_b32 exec_lo, exec_lo, s1
	v_readfirstlane_b32 s0, v49
	v_mov_b32_e32 v13, 0
	v_mov_b32_e32 v14, 0
	v_cmp_eq_u32_e64 s0, s0, v49
	s_delay_alu instid0(VALU_DEP_1)
	s_and_saveexec_b32 s1, s0
	s_cbranch_execz .LBB2_264
; %bb.259:
	v_mov_b32_e32 v0, 0
	s_mov_b32 s4, exec_lo
	global_load_b64 v[15:16], v0, s[2:3] offset:24 glc
	s_waitcnt vmcnt(0)
	buffer_gl1_inv
	buffer_gl0_inv
	s_clause 0x1
	global_load_b64 v[1:2], v0, s[2:3] offset:40
	global_load_b64 v[11:12], v0, s[2:3]
	s_waitcnt vmcnt(1)
	v_and_b32_e32 v1, v1, v15
	v_and_b32_e32 v2, v2, v16
	s_delay_alu instid0(VALU_DEP_2) | instskip(NEXT) | instid1(VALU_DEP_2)
	v_mul_hi_u32 v3, v1, 24
	v_mul_lo_u32 v2, v2, 24
	v_mul_lo_u32 v1, v1, 24
	s_delay_alu instid0(VALU_DEP_2) | instskip(SKIP_1) | instid1(VALU_DEP_2)
	v_add_nc_u32_e32 v2, v3, v2
	s_waitcnt vmcnt(0)
	v_add_co_u32 v1, vcc_lo, v11, v1
	s_delay_alu instid0(VALU_DEP_2)
	v_add_co_ci_u32_e32 v2, vcc_lo, v12, v2, vcc_lo
	global_load_b64 v[13:14], v[1:2], off glc
	s_waitcnt vmcnt(0)
	global_atomic_cmpswap_b64 v[13:14], v0, v[13:16], s[2:3] offset:24 glc
	s_waitcnt vmcnt(0)
	buffer_gl1_inv
	buffer_gl0_inv
	v_cmpx_ne_u64_e64 v[13:14], v[15:16]
	s_cbranch_execz .LBB2_263
; %bb.260:
	s_mov_b32 s5, 0
	.p2align	6
.LBB2_261:                              ; =>This Inner Loop Header: Depth=1
	s_sleep 1
	s_clause 0x1
	global_load_b64 v[1:2], v0, s[2:3] offset:40
	global_load_b64 v[11:12], v0, s[2:3]
	v_dual_mov_b32 v16, v14 :: v_dual_mov_b32 v15, v13
	s_waitcnt vmcnt(1)
	s_delay_alu instid0(VALU_DEP_1) | instskip(SKIP_1) | instid1(VALU_DEP_1)
	v_and_b32_e32 v1, v1, v15
	s_waitcnt vmcnt(0)
	v_mad_u64_u32 v[13:14], null, v1, 24, v[11:12]
	v_and_b32_e32 v11, v2, v16
	s_delay_alu instid0(VALU_DEP_2) | instskip(NEXT) | instid1(VALU_DEP_1)
	v_mov_b32_e32 v1, v14
	v_mad_u64_u32 v[2:3], null, v11, 24, v[1:2]
	s_delay_alu instid0(VALU_DEP_1)
	v_mov_b32_e32 v14, v2
	global_load_b64 v[13:14], v[13:14], off glc
	s_waitcnt vmcnt(0)
	global_atomic_cmpswap_b64 v[13:14], v0, v[13:16], s[2:3] offset:24 glc
	s_waitcnt vmcnt(0)
	buffer_gl1_inv
	buffer_gl0_inv
	v_cmp_eq_u64_e32 vcc_lo, v[13:14], v[15:16]
	s_or_b32 s5, vcc_lo, s5
	s_delay_alu instid0(SALU_CYCLE_1)
	s_and_not1_b32 exec_lo, exec_lo, s5
	s_cbranch_execnz .LBB2_261
; %bb.262:
	s_or_b32 exec_lo, exec_lo, s5
.LBB2_263:
	s_delay_alu instid0(SALU_CYCLE_1)
	s_or_b32 exec_lo, exec_lo, s4
.LBB2_264:
	s_delay_alu instid0(SALU_CYCLE_1)
	s_or_b32 exec_lo, exec_lo, s1
	s_waitcnt vmcnt(0)
	v_mov_b32_e32 v12, 0
	v_readfirstlane_b32 s4, v13
	v_readfirstlane_b32 s5, v14
	s_mov_b32 s1, exec_lo
	s_clause 0x1
	global_load_b64 v[15:16], v12, s[2:3] offset:40
	global_load_b128 v[0:3], v12, s[2:3]
	s_waitcnt vmcnt(1)
	v_readfirstlane_b32 s6, v15
	v_readfirstlane_b32 s7, v16
	s_delay_alu instid0(VALU_DEP_1) | instskip(NEXT) | instid1(SALU_CYCLE_1)
	s_and_b64 s[6:7], s[4:5], s[6:7]
	s_mul_i32 s10, s7, 24
	s_mul_hi_u32 s11, s6, 24
	s_mul_i32 s12, s6, 24
	s_add_i32 s11, s11, s10
	s_waitcnt vmcnt(0)
	v_add_co_u32 v13, vcc_lo, v0, s12
	v_add_co_ci_u32_e32 v14, vcc_lo, s11, v1, vcc_lo
	s_and_saveexec_b32 s10, s0
	s_cbranch_execz .LBB2_266
; %bb.265:
	v_dual_mov_b32 v11, s1 :: v_dual_mov_b32 v18, 1
	v_dual_mov_b32 v17, 2 :: v_dual_mov_b32 v16, v12
	s_delay_alu instid0(VALU_DEP_2)
	v_mov_b32_e32 v15, v11
	global_store_b128 v[13:14], v[15:18], off offset:8
.LBB2_266:
	s_or_b32 exec_lo, exec_lo, s10
	s_lshl_b64 s[6:7], s[6:7], 12
	s_mov_b32 s12, 0
	v_add_co_u32 v2, vcc_lo, v2, s6
	v_add_co_ci_u32_e32 v3, vcc_lo, s7, v3, vcc_lo
	s_mov_b32 s15, s12
	s_delay_alu instid0(VALU_DEP_2)
	v_add_co_u32 v15, vcc_lo, v2, v48
	s_mov_b32 s13, s12
	s_mov_b32 s14, s12
	v_and_or_b32 v9, 0xffffff1f, v9, 32
	v_dual_mov_b32 v11, v4 :: v_dual_mov_b32 v20, s15
	v_readfirstlane_b32 s6, v2
	v_readfirstlane_b32 s7, v3
	v_add_co_ci_u32_e32 v16, vcc_lo, 0, v3, vcc_lo
	v_dual_mov_b32 v19, s14 :: v_dual_mov_b32 v18, s13
	v_mov_b32_e32 v17, s12
	s_clause 0x3
	global_store_b128 v48, v[9:12], s[6:7]
	global_store_b128 v48, v[17:20], s[6:7] offset:16
	global_store_b128 v48, v[17:20], s[6:7] offset:32
	;; [unrolled: 1-line block ×3, first 2 shown]
	s_and_saveexec_b32 s1, s0
	s_cbranch_execz .LBB2_274
; %bb.267:
	v_dual_mov_b32 v4, 0 :: v_dual_mov_b32 v17, s4
	v_mov_b32_e32 v18, s5
	s_clause 0x1
	global_load_b64 v[19:20], v4, s[2:3] offset:32 glc
	global_load_b64 v[2:3], v4, s[2:3] offset:40
	s_waitcnt vmcnt(0)
	v_readfirstlane_b32 s6, v2
	v_readfirstlane_b32 s7, v3
	s_delay_alu instid0(VALU_DEP_1) | instskip(NEXT) | instid1(SALU_CYCLE_1)
	s_and_b64 s[6:7], s[6:7], s[4:5]
	s_mul_i32 s7, s7, 24
	s_mul_hi_u32 s10, s6, 24
	s_mul_i32 s6, s6, 24
	s_add_i32 s10, s10, s7
	v_add_co_u32 v9, vcc_lo, v0, s6
	v_add_co_ci_u32_e32 v10, vcc_lo, s10, v1, vcc_lo
	s_mov_b32 s6, exec_lo
	global_store_b64 v[9:10], v[19:20], off
	s_waitcnt_vscnt null, 0x0
	global_atomic_cmpswap_b64 v[2:3], v4, v[17:20], s[2:3] offset:32 glc
	s_waitcnt vmcnt(0)
	v_cmpx_ne_u64_e64 v[2:3], v[19:20]
	s_cbranch_execz .LBB2_270
; %bb.268:
	s_mov_b32 s7, 0
.LBB2_269:                              ; =>This Inner Loop Header: Depth=1
	v_dual_mov_b32 v0, s4 :: v_dual_mov_b32 v1, s5
	s_sleep 1
	global_store_b64 v[9:10], v[2:3], off
	s_waitcnt_vscnt null, 0x0
	global_atomic_cmpswap_b64 v[0:1], v4, v[0:3], s[2:3] offset:32 glc
	s_waitcnt vmcnt(0)
	v_cmp_eq_u64_e32 vcc_lo, v[0:1], v[2:3]
	v_dual_mov_b32 v3, v1 :: v_dual_mov_b32 v2, v0
	s_or_b32 s7, vcc_lo, s7
	s_delay_alu instid0(SALU_CYCLE_1)
	s_and_not1_b32 exec_lo, exec_lo, s7
	s_cbranch_execnz .LBB2_269
.LBB2_270:
	s_or_b32 exec_lo, exec_lo, s6
	v_mov_b32_e32 v3, 0
	s_mov_b32 s7, exec_lo
	s_mov_b32 s6, exec_lo
	v_mbcnt_lo_u32_b32 v2, s7, 0
	global_load_b64 v[0:1], v3, s[2:3] offset:16
	v_cmpx_eq_u32_e32 0, v2
	s_cbranch_execz .LBB2_272
; %bb.271:
	s_bcnt1_i32_b32 s7, s7
	s_delay_alu instid0(SALU_CYCLE_1)
	v_mov_b32_e32 v2, s7
	s_waitcnt vmcnt(0)
	global_atomic_add_u64 v[0:1], v[2:3], off offset:8
.LBB2_272:
	s_or_b32 exec_lo, exec_lo, s6
	s_waitcnt vmcnt(0)
	global_load_b64 v[2:3], v[0:1], off offset:16
	s_waitcnt vmcnt(0)
	v_cmp_eq_u64_e32 vcc_lo, 0, v[2:3]
	s_cbranch_vccnz .LBB2_274
; %bb.273:
	global_load_b32 v0, v[0:1], off offset:24
	s_waitcnt vmcnt(0)
	v_dual_mov_b32 v1, 0 :: v_dual_and_b32 v4, 0xffffff, v0
	s_waitcnt_vscnt null, 0x0
	global_store_b64 v[2:3], v[0:1], off
	v_readfirstlane_b32 m0, v4
	s_sendmsg sendmsg(MSG_INTERRUPT)
.LBB2_274:
	s_or_b32 exec_lo, exec_lo, s1
	s_branch .LBB2_278
	.p2align	6
.LBB2_275:                              ;   in Loop: Header=BB2_278 Depth=1
	s_or_b32 exec_lo, exec_lo, s1
	s_delay_alu instid0(VALU_DEP_1) | instskip(NEXT) | instid1(VALU_DEP_1)
	v_readfirstlane_b32 s1, v0
	s_cmp_eq_u32 s1, 0
	s_cbranch_scc1 .LBB2_277
; %bb.276:                              ;   in Loop: Header=BB2_278 Depth=1
	s_sleep 1
	s_cbranch_execnz .LBB2_278
	s_branch .LBB2_280
	.p2align	6
.LBB2_277:
	s_branch .LBB2_280
.LBB2_278:                              ; =>This Inner Loop Header: Depth=1
	v_mov_b32_e32 v0, 1
	s_and_saveexec_b32 s1, s0
	s_cbranch_execz .LBB2_275
; %bb.279:                              ;   in Loop: Header=BB2_278 Depth=1
	global_load_b32 v0, v[13:14], off offset:20 glc
	s_waitcnt vmcnt(0)
	buffer_gl1_inv
	buffer_gl0_inv
	v_and_b32_e32 v0, 1, v0
	s_branch .LBB2_275
.LBB2_280:
	global_load_b64 v[0:1], v[15:16], off
	s_and_saveexec_b32 s1, s0
	s_cbranch_execz .LBB2_284
; %bb.281:
	v_mov_b32_e32 v4, 0
	s_clause 0x2
	global_load_b64 v[2:3], v4, s[2:3] offset:40
	global_load_b64 v[13:14], v4, s[2:3] offset:24 glc
	global_load_b64 v[11:12], v4, s[2:3]
	s_waitcnt vmcnt(2)
	v_add_co_u32 v15, vcc_lo, v2, 1
	v_add_co_ci_u32_e32 v16, vcc_lo, 0, v3, vcc_lo
	s_delay_alu instid0(VALU_DEP_2) | instskip(NEXT) | instid1(VALU_DEP_2)
	v_add_co_u32 v9, vcc_lo, v15, s4
	v_add_co_ci_u32_e32 v10, vcc_lo, s5, v16, vcc_lo
	s_delay_alu instid0(VALU_DEP_1) | instskip(SKIP_1) | instid1(VALU_DEP_1)
	v_cmp_eq_u64_e32 vcc_lo, 0, v[9:10]
	v_cndmask_b32_e32 v9, v9, v15, vcc_lo
	v_and_b32_e32 v2, v9, v2
	s_delay_alu instid0(VALU_DEP_1) | instskip(SKIP_2) | instid1(VALU_DEP_2)
	v_mul_hi_u32 v15, v2, 24
	v_cndmask_b32_e32 v10, v10, v16, vcc_lo
	v_mul_lo_u32 v2, v2, 24
	v_and_b32_e32 v3, v10, v3
	s_waitcnt vmcnt(0)
	s_delay_alu instid0(VALU_DEP_2) | instskip(NEXT) | instid1(VALU_DEP_2)
	v_add_co_u32 v2, vcc_lo, v11, v2
	v_mul_lo_u32 v3, v3, 24
	v_mov_b32_e32 v11, v13
	s_delay_alu instid0(VALU_DEP_2) | instskip(NEXT) | instid1(VALU_DEP_1)
	v_add_nc_u32_e32 v3, v15, v3
	v_add_co_ci_u32_e32 v3, vcc_lo, v12, v3, vcc_lo
	v_mov_b32_e32 v12, v14
	global_store_b64 v[2:3], v[13:14], off
	s_waitcnt_vscnt null, 0x0
	global_atomic_cmpswap_b64 v[11:12], v4, v[9:12], s[2:3] offset:24 glc
	s_waitcnt vmcnt(0)
	v_cmp_ne_u64_e32 vcc_lo, v[11:12], v[13:14]
	s_and_b32 exec_lo, exec_lo, vcc_lo
	s_cbranch_execz .LBB2_284
; %bb.282:
	s_mov_b32 s0, 0
.LBB2_283:                              ; =>This Inner Loop Header: Depth=1
	s_sleep 1
	global_store_b64 v[2:3], v[11:12], off
	s_waitcnt_vscnt null, 0x0
	global_atomic_cmpswap_b64 v[13:14], v4, v[9:12], s[2:3] offset:24 glc
	s_waitcnt vmcnt(0)
	v_cmp_eq_u64_e32 vcc_lo, v[13:14], v[11:12]
	v_dual_mov_b32 v11, v13 :: v_dual_mov_b32 v12, v14
	s_or_b32 s0, vcc_lo, s0
	s_delay_alu instid0(SALU_CYCLE_1)
	s_and_not1_b32 exec_lo, exec_lo, s0
	s_cbranch_execnz .LBB2_283
.LBB2_284:
	s_or_b32 exec_lo, exec_lo, s1
	v_dual_mov_b32 v3, v5 :: v_dual_mov_b32 v4, v6
	s_mov_b32 s0, 0
.LBB2_285:                              ; =>This Inner Loop Header: Depth=1
	flat_load_u8 v9, v[3:4]
	v_add_co_u32 v2, vcc_lo, v3, 1
	v_add_co_ci_u32_e32 v3, vcc_lo, 0, v4, vcc_lo
	s_delay_alu instid0(VALU_DEP_1) | instskip(NEXT) | instid1(VALU_DEP_3)
	v_mov_b32_e32 v4, v3
	v_mov_b32_e32 v3, v2
	s_waitcnt vmcnt(0) lgkmcnt(0)
	v_cmp_eq_u16_e32 vcc_lo, 0, v9
	s_or_b32 s0, vcc_lo, s0
	s_delay_alu instid0(SALU_CYCLE_1)
	s_and_not1_b32 exec_lo, exec_lo, s0
	s_cbranch_execnz .LBB2_285
; %bb.286:
	s_or_b32 exec_lo, exec_lo, s0
	s_delay_alu instid0(SALU_CYCLE_1)
	s_mov_b32 s0, exec_lo
	v_cmpx_ne_u64_e32 0, v[5:6]
	s_xor_b32 s10, exec_lo, s0
	s_cbranch_execz .LBB2_372
; %bb.287:
	v_sub_nc_u32_e32 v29, v2, v5
	v_dual_mov_b32 v11, 2 :: v_dual_and_b32 v4, 2, v0
	v_mov_b32_e32 v10, 0
	v_and_b32_e32 v0, -3, v0
	s_delay_alu instid0(VALU_DEP_4)
	v_ashrrev_i32_e32 v30, 31, v29
	v_mov_b32_e32 v12, 1
	s_mov_b32 s12, 0
	s_mov_b32 s11, 0
	s_branch .LBB2_289
.LBB2_288:                              ;   in Loop: Header=BB2_289 Depth=1
	s_or_b32 exec_lo, exec_lo, s1
	v_sub_co_u32 v29, vcc_lo, v29, v31
	v_sub_co_ci_u32_e32 v30, vcc_lo, v30, v32, vcc_lo
	v_add_co_u32 v5, s0, v5, v31
	s_delay_alu instid0(VALU_DEP_1) | instskip(NEXT) | instid1(VALU_DEP_3)
	v_add_co_ci_u32_e64 v6, s0, v6, v32, s0
	v_cmp_eq_u64_e32 vcc_lo, 0, v[29:30]
	s_or_b32 s11, vcc_lo, s11
	s_delay_alu instid0(SALU_CYCLE_1)
	s_and_not1_b32 exec_lo, exec_lo, s11
	s_cbranch_execz .LBB2_371
.LBB2_289:                              ; =>This Loop Header: Depth=1
                                        ;     Child Loop BB2_292 Depth 2
                                        ;     Child Loop BB2_300 Depth 2
	;; [unrolled: 1-line block ×11, first 2 shown]
	v_cmp_gt_u64_e32 vcc_lo, 56, v[29:30]
	s_mov_b32 s1, exec_lo
                                        ; implicit-def: $vgpr2_vgpr3
                                        ; implicit-def: $sgpr4
	v_dual_cndmask_b32 v32, 0, v30 :: v_dual_cndmask_b32 v31, 56, v29
	v_cmpx_gt_u64_e32 8, v[29:30]
	s_xor_b32 s1, exec_lo, s1
	s_cbranch_execz .LBB2_295
; %bb.290:                              ;   in Loop: Header=BB2_289 Depth=1
	s_waitcnt vmcnt(0)
	v_mov_b32_e32 v2, 0
	v_mov_b32_e32 v3, 0
	s_mov_b64 s[4:5], 0
	s_mov_b32 s6, exec_lo
	v_cmpx_ne_u64_e32 0, v[29:30]
	s_cbranch_execz .LBB2_294
; %bb.291:                              ;   in Loop: Header=BB2_289 Depth=1
	v_lshlrev_b64 v[13:14], 3, v[31:32]
	v_dual_mov_b32 v2, 0 :: v_dual_mov_b32 v15, v6
	v_dual_mov_b32 v3, 0 :: v_dual_mov_b32 v14, v5
	s_mov_b32 s7, 0
	.p2align	6
.LBB2_292:                              ;   Parent Loop BB2_289 Depth=1
                                        ; =>  This Inner Loop Header: Depth=2
	flat_load_u8 v9, v[14:15]
	v_mov_b32_e32 v17, s12
	v_add_co_u32 v14, vcc_lo, v14, 1
	v_add_co_ci_u32_e32 v15, vcc_lo, 0, v15, vcc_lo
	s_waitcnt vmcnt(0) lgkmcnt(0)
	v_and_b32_e32 v16, 0xffff, v9
	s_delay_alu instid0(VALU_DEP_1) | instskip(SKIP_3) | instid1(VALU_DEP_2)
	v_lshlrev_b64 v[16:17], s4, v[16:17]
	s_add_u32 s4, s4, 8
	s_addc_u32 s5, s5, 0
	v_cmp_eq_u32_e64 s0, s4, v13
	v_or_b32_e32 v3, v17, v3
	s_delay_alu instid0(VALU_DEP_3) | instskip(NEXT) | instid1(VALU_DEP_3)
	v_or_b32_e32 v2, v16, v2
	s_or_b32 s7, s0, s7
	s_delay_alu instid0(SALU_CYCLE_1)
	s_and_not1_b32 exec_lo, exec_lo, s7
	s_cbranch_execnz .LBB2_292
; %bb.293:                              ;   in Loop: Header=BB2_289 Depth=1
	s_or_b32 exec_lo, exec_lo, s7
.LBB2_294:                              ;   in Loop: Header=BB2_289 Depth=1
	s_delay_alu instid0(SALU_CYCLE_1)
	s_or_b32 exec_lo, exec_lo, s6
	s_mov_b32 s4, 0
.LBB2_295:                              ;   in Loop: Header=BB2_289 Depth=1
	s_or_saveexec_b32 s0, s1
	v_dual_mov_b32 v9, s4 :: v_dual_mov_b32 v26, v6
	v_mov_b32_e32 v25, v5
	s_xor_b32 exec_lo, exec_lo, s0
	s_cbranch_execz .LBB2_297
; %bb.296:                              ;   in Loop: Header=BB2_289 Depth=1
	s_waitcnt vmcnt(0)
	flat_load_b64 v[2:3], v[5:6]
	v_add_co_u32 v25, vcc_lo, v5, 8
	v_add_co_ci_u32_e32 v26, vcc_lo, 0, v6, vcc_lo
	s_waitcnt vmcnt(0) lgkmcnt(0)
	v_and_b32_e32 v9, 0xff, v3
	v_and_b32_e32 v13, 0xff00, v3
	;; [unrolled: 1-line block ×4, first 2 shown]
	v_or3_b32 v2, v2, 0, 0
	s_delay_alu instid0(VALU_DEP_4) | instskip(SKIP_1) | instid1(VALU_DEP_2)
	v_or_b32_e32 v13, v9, v13
	v_add_nc_u32_e32 v9, -8, v31
	v_or3_b32 v3, v13, v14, v3
.LBB2_297:                              ;   in Loop: Header=BB2_289 Depth=1
	s_or_b32 exec_lo, exec_lo, s0
                                        ; implicit-def: $vgpr13_vgpr14
                                        ; implicit-def: $sgpr1
	s_delay_alu instid0(SALU_CYCLE_1) | instskip(NEXT) | instid1(VALU_DEP_2)
	s_mov_b32 s0, exec_lo
	v_cmpx_gt_u32_e32 8, v9
	s_xor_b32 s6, exec_lo, s0
	s_cbranch_execz .LBB2_303
; %bb.298:                              ;   in Loop: Header=BB2_289 Depth=1
	v_mov_b32_e32 v13, 0
	v_mov_b32_e32 v14, 0
	s_mov_b32 s7, exec_lo
	v_cmpx_ne_u32_e32 0, v9
	s_cbranch_execz .LBB2_302
; %bb.299:                              ;   in Loop: Header=BB2_289 Depth=1
	v_mov_b32_e32 v13, 0
	v_mov_b32_e32 v14, 0
	s_mov_b64 s[0:1], 0
	s_mov_b32 s13, 0
	s_mov_b64 s[4:5], 0
	.p2align	6
.LBB2_300:                              ;   Parent Loop BB2_289 Depth=1
                                        ; =>  This Inner Loop Header: Depth=2
	s_delay_alu instid0(SALU_CYCLE_1)
	v_add_co_u32 v15, vcc_lo, v25, s4
	v_add_co_ci_u32_e32 v16, vcc_lo, s5, v26, vcc_lo
	s_add_u32 s4, s4, 1
	s_addc_u32 s5, s5, 0
	v_cmp_eq_u32_e32 vcc_lo, s4, v9
	flat_load_u8 v15, v[15:16]
	s_waitcnt vmcnt(0) lgkmcnt(0)
	v_dual_mov_b32 v16, s12 :: v_dual_and_b32 v15, 0xffff, v15
	s_delay_alu instid0(VALU_DEP_1) | instskip(SKIP_3) | instid1(VALU_DEP_1)
	v_lshlrev_b64 v[15:16], s0, v[15:16]
	s_add_u32 s0, s0, 8
	s_addc_u32 s1, s1, 0
	s_or_b32 s13, vcc_lo, s13
	v_or_b32_e32 v14, v16, v14
	s_delay_alu instid0(VALU_DEP_2)
	v_or_b32_e32 v13, v15, v13
	s_and_not1_b32 exec_lo, exec_lo, s13
	s_cbranch_execnz .LBB2_300
; %bb.301:                              ;   in Loop: Header=BB2_289 Depth=1
	s_or_b32 exec_lo, exec_lo, s13
.LBB2_302:                              ;   in Loop: Header=BB2_289 Depth=1
	s_delay_alu instid0(SALU_CYCLE_1)
	s_or_b32 exec_lo, exec_lo, s7
	s_mov_b32 s1, 0
                                        ; implicit-def: $vgpr9
.LBB2_303:                              ;   in Loop: Header=BB2_289 Depth=1
	s_or_saveexec_b32 s0, s6
	v_mov_b32_e32 v17, s1
	s_xor_b32 exec_lo, exec_lo, s0
	s_cbranch_execz .LBB2_305
; %bb.304:                              ;   in Loop: Header=BB2_289 Depth=1
	flat_load_b64 v[13:14], v[25:26]
	v_add_co_u32 v25, vcc_lo, v25, 8
	v_add_nc_u32_e32 v17, -8, v9
	v_add_co_ci_u32_e32 v26, vcc_lo, 0, v26, vcc_lo
	s_waitcnt vmcnt(0) lgkmcnt(0)
	v_and_b32_e32 v15, 0xff, v14
	v_and_b32_e32 v16, 0xff00, v14
	;; [unrolled: 1-line block ×4, first 2 shown]
	v_or3_b32 v13, v13, 0, 0
	s_delay_alu instid0(VALU_DEP_4) | instskip(NEXT) | instid1(VALU_DEP_1)
	v_or_b32_e32 v15, v15, v16
	v_or3_b32 v14, v15, v18, v14
.LBB2_305:                              ;   in Loop: Header=BB2_289 Depth=1
	s_or_b32 exec_lo, exec_lo, s0
                                        ; implicit-def: $sgpr1
	s_delay_alu instid0(SALU_CYCLE_1)
	s_mov_b32 s0, exec_lo
	v_cmpx_gt_u32_e32 8, v17
	s_xor_b32 s6, exec_lo, s0
	s_cbranch_execz .LBB2_311
; %bb.306:                              ;   in Loop: Header=BB2_289 Depth=1
	v_mov_b32_e32 v15, 0
	v_mov_b32_e32 v16, 0
	s_mov_b32 s7, exec_lo
	v_cmpx_ne_u32_e32 0, v17
	s_cbranch_execz .LBB2_310
; %bb.307:                              ;   in Loop: Header=BB2_289 Depth=1
	v_mov_b32_e32 v15, 0
	v_mov_b32_e32 v16, 0
	s_mov_b64 s[0:1], 0
	s_mov_b32 s13, 0
	s_mov_b64 s[4:5], 0
	.p2align	6
.LBB2_308:                              ;   Parent Loop BB2_289 Depth=1
                                        ; =>  This Inner Loop Header: Depth=2
	s_delay_alu instid0(SALU_CYCLE_1)
	v_add_co_u32 v18, vcc_lo, v25, s4
	v_add_co_ci_u32_e32 v19, vcc_lo, s5, v26, vcc_lo
	s_add_u32 s4, s4, 1
	s_addc_u32 s5, s5, 0
	v_cmp_eq_u32_e32 vcc_lo, s4, v17
	flat_load_u8 v9, v[18:19]
	s_waitcnt vmcnt(0) lgkmcnt(0)
	v_dual_mov_b32 v19, s12 :: v_dual_and_b32 v18, 0xffff, v9
	s_delay_alu instid0(VALU_DEP_1) | instskip(SKIP_3) | instid1(VALU_DEP_1)
	v_lshlrev_b64 v[18:19], s0, v[18:19]
	s_add_u32 s0, s0, 8
	s_addc_u32 s1, s1, 0
	s_or_b32 s13, vcc_lo, s13
	v_or_b32_e32 v16, v19, v16
	s_delay_alu instid0(VALU_DEP_2)
	v_or_b32_e32 v15, v18, v15
	s_and_not1_b32 exec_lo, exec_lo, s13
	s_cbranch_execnz .LBB2_308
; %bb.309:                              ;   in Loop: Header=BB2_289 Depth=1
	s_or_b32 exec_lo, exec_lo, s13
.LBB2_310:                              ;   in Loop: Header=BB2_289 Depth=1
	s_delay_alu instid0(SALU_CYCLE_1)
	s_or_b32 exec_lo, exec_lo, s7
	s_mov_b32 s1, 0
                                        ; implicit-def: $vgpr17
.LBB2_311:                              ;   in Loop: Header=BB2_289 Depth=1
	s_or_saveexec_b32 s0, s6
	v_mov_b32_e32 v9, s1
	s_xor_b32 exec_lo, exec_lo, s0
	s_cbranch_execz .LBB2_313
; %bb.312:                              ;   in Loop: Header=BB2_289 Depth=1
	flat_load_b64 v[15:16], v[25:26]
	v_add_co_u32 v25, vcc_lo, v25, 8
	v_add_co_ci_u32_e32 v26, vcc_lo, 0, v26, vcc_lo
	s_waitcnt vmcnt(0) lgkmcnt(0)
	v_and_b32_e32 v9, 0xff, v16
	v_and_b32_e32 v18, 0xff00, v16
	;; [unrolled: 1-line block ×4, first 2 shown]
	v_or3_b32 v15, v15, 0, 0
	s_delay_alu instid0(VALU_DEP_4) | instskip(SKIP_1) | instid1(VALU_DEP_2)
	v_or_b32_e32 v18, v9, v18
	v_add_nc_u32_e32 v9, -8, v17
	v_or3_b32 v16, v18, v19, v16
.LBB2_313:                              ;   in Loop: Header=BB2_289 Depth=1
	s_or_b32 exec_lo, exec_lo, s0
                                        ; implicit-def: $vgpr17_vgpr18
                                        ; implicit-def: $sgpr1
	s_delay_alu instid0(SALU_CYCLE_1) | instskip(NEXT) | instid1(VALU_DEP_1)
	s_mov_b32 s0, exec_lo
	v_cmpx_gt_u32_e32 8, v9
	s_xor_b32 s6, exec_lo, s0
	s_cbranch_execz .LBB2_319
; %bb.314:                              ;   in Loop: Header=BB2_289 Depth=1
	v_mov_b32_e32 v17, 0
	v_mov_b32_e32 v18, 0
	s_mov_b32 s7, exec_lo
	v_cmpx_ne_u32_e32 0, v9
	s_cbranch_execz .LBB2_318
; %bb.315:                              ;   in Loop: Header=BB2_289 Depth=1
	v_mov_b32_e32 v17, 0
	v_mov_b32_e32 v18, 0
	s_mov_b64 s[0:1], 0
	s_mov_b32 s13, 0
	s_mov_b64 s[4:5], 0
	.p2align	6
.LBB2_316:                              ;   Parent Loop BB2_289 Depth=1
                                        ; =>  This Inner Loop Header: Depth=2
	s_delay_alu instid0(SALU_CYCLE_1)
	v_add_co_u32 v19, vcc_lo, v25, s4
	v_add_co_ci_u32_e32 v20, vcc_lo, s5, v26, vcc_lo
	s_add_u32 s4, s4, 1
	s_addc_u32 s5, s5, 0
	v_cmp_eq_u32_e32 vcc_lo, s4, v9
	flat_load_u8 v19, v[19:20]
	s_waitcnt vmcnt(0) lgkmcnt(0)
	v_dual_mov_b32 v20, s12 :: v_dual_and_b32 v19, 0xffff, v19
	s_delay_alu instid0(VALU_DEP_1) | instskip(SKIP_3) | instid1(VALU_DEP_1)
	v_lshlrev_b64 v[19:20], s0, v[19:20]
	s_add_u32 s0, s0, 8
	s_addc_u32 s1, s1, 0
	s_or_b32 s13, vcc_lo, s13
	v_or_b32_e32 v18, v20, v18
	s_delay_alu instid0(VALU_DEP_2)
	v_or_b32_e32 v17, v19, v17
	s_and_not1_b32 exec_lo, exec_lo, s13
	s_cbranch_execnz .LBB2_316
; %bb.317:                              ;   in Loop: Header=BB2_289 Depth=1
	s_or_b32 exec_lo, exec_lo, s13
.LBB2_318:                              ;   in Loop: Header=BB2_289 Depth=1
	s_delay_alu instid0(SALU_CYCLE_1)
	s_or_b32 exec_lo, exec_lo, s7
	s_mov_b32 s1, 0
                                        ; implicit-def: $vgpr9
.LBB2_319:                              ;   in Loop: Header=BB2_289 Depth=1
	s_or_saveexec_b32 s0, s6
	v_mov_b32_e32 v21, s1
	s_xor_b32 exec_lo, exec_lo, s0
	s_cbranch_execz .LBB2_321
; %bb.320:                              ;   in Loop: Header=BB2_289 Depth=1
	flat_load_b64 v[17:18], v[25:26]
	v_add_co_u32 v25, vcc_lo, v25, 8
	v_add_nc_u32_e32 v21, -8, v9
	v_add_co_ci_u32_e32 v26, vcc_lo, 0, v26, vcc_lo
	s_waitcnt vmcnt(0) lgkmcnt(0)
	v_and_b32_e32 v19, 0xff, v18
	v_and_b32_e32 v20, 0xff00, v18
	;; [unrolled: 1-line block ×4, first 2 shown]
	v_or3_b32 v17, v17, 0, 0
	s_delay_alu instid0(VALU_DEP_4) | instskip(NEXT) | instid1(VALU_DEP_1)
	v_or_b32_e32 v19, v19, v20
	v_or3_b32 v18, v19, v22, v18
.LBB2_321:                              ;   in Loop: Header=BB2_289 Depth=1
	s_or_b32 exec_lo, exec_lo, s0
                                        ; implicit-def: $sgpr1
	s_delay_alu instid0(SALU_CYCLE_1)
	s_mov_b32 s0, exec_lo
	v_cmpx_gt_u32_e32 8, v21
	s_xor_b32 s6, exec_lo, s0
	s_cbranch_execz .LBB2_327
; %bb.322:                              ;   in Loop: Header=BB2_289 Depth=1
	v_mov_b32_e32 v19, 0
	v_mov_b32_e32 v20, 0
	s_mov_b32 s7, exec_lo
	v_cmpx_ne_u32_e32 0, v21
	s_cbranch_execz .LBB2_326
; %bb.323:                              ;   in Loop: Header=BB2_289 Depth=1
	v_mov_b32_e32 v19, 0
	v_mov_b32_e32 v20, 0
	s_mov_b64 s[0:1], 0
	s_mov_b32 s13, 0
	s_mov_b64 s[4:5], 0
	.p2align	6
.LBB2_324:                              ;   Parent Loop BB2_289 Depth=1
                                        ; =>  This Inner Loop Header: Depth=2
	s_delay_alu instid0(SALU_CYCLE_1)
	v_add_co_u32 v22, vcc_lo, v25, s4
	v_add_co_ci_u32_e32 v23, vcc_lo, s5, v26, vcc_lo
	s_add_u32 s4, s4, 1
	s_addc_u32 s5, s5, 0
	v_cmp_eq_u32_e32 vcc_lo, s4, v21
	flat_load_u8 v9, v[22:23]
	s_waitcnt vmcnt(0) lgkmcnt(0)
	v_dual_mov_b32 v23, s12 :: v_dual_and_b32 v22, 0xffff, v9
	s_delay_alu instid0(VALU_DEP_1) | instskip(SKIP_3) | instid1(VALU_DEP_1)
	v_lshlrev_b64 v[22:23], s0, v[22:23]
	s_add_u32 s0, s0, 8
	s_addc_u32 s1, s1, 0
	s_or_b32 s13, vcc_lo, s13
	v_or_b32_e32 v20, v23, v20
	s_delay_alu instid0(VALU_DEP_2)
	v_or_b32_e32 v19, v22, v19
	s_and_not1_b32 exec_lo, exec_lo, s13
	s_cbranch_execnz .LBB2_324
; %bb.325:                              ;   in Loop: Header=BB2_289 Depth=1
	s_or_b32 exec_lo, exec_lo, s13
.LBB2_326:                              ;   in Loop: Header=BB2_289 Depth=1
	s_delay_alu instid0(SALU_CYCLE_1)
	s_or_b32 exec_lo, exec_lo, s7
	s_mov_b32 s1, 0
                                        ; implicit-def: $vgpr21
.LBB2_327:                              ;   in Loop: Header=BB2_289 Depth=1
	s_or_saveexec_b32 s0, s6
	v_mov_b32_e32 v9, s1
	s_xor_b32 exec_lo, exec_lo, s0
	s_cbranch_execz .LBB2_329
; %bb.328:                              ;   in Loop: Header=BB2_289 Depth=1
	flat_load_b64 v[19:20], v[25:26]
	v_add_co_u32 v25, vcc_lo, v25, 8
	v_add_co_ci_u32_e32 v26, vcc_lo, 0, v26, vcc_lo
	s_waitcnt vmcnt(0) lgkmcnt(0)
	v_and_b32_e32 v9, 0xff, v20
	v_and_b32_e32 v22, 0xff00, v20
	;; [unrolled: 1-line block ×4, first 2 shown]
	v_or3_b32 v19, v19, 0, 0
	s_delay_alu instid0(VALU_DEP_4) | instskip(SKIP_1) | instid1(VALU_DEP_2)
	v_or_b32_e32 v22, v9, v22
	v_add_nc_u32_e32 v9, -8, v21
	v_or3_b32 v20, v22, v23, v20
.LBB2_329:                              ;   in Loop: Header=BB2_289 Depth=1
	s_or_b32 exec_lo, exec_lo, s0
                                        ; implicit-def: $vgpr21_vgpr22
                                        ; implicit-def: $sgpr1
	s_delay_alu instid0(SALU_CYCLE_1) | instskip(NEXT) | instid1(VALU_DEP_1)
	s_mov_b32 s0, exec_lo
	v_cmpx_gt_u32_e32 8, v9
	s_xor_b32 s6, exec_lo, s0
	s_cbranch_execz .LBB2_335
; %bb.330:                              ;   in Loop: Header=BB2_289 Depth=1
	v_mov_b32_e32 v21, 0
	v_mov_b32_e32 v22, 0
	s_mov_b32 s7, exec_lo
	v_cmpx_ne_u32_e32 0, v9
	s_cbranch_execz .LBB2_334
; %bb.331:                              ;   in Loop: Header=BB2_289 Depth=1
	v_mov_b32_e32 v21, 0
	v_mov_b32_e32 v22, 0
	s_mov_b64 s[0:1], 0
	s_mov_b32 s13, 0
	s_mov_b64 s[4:5], 0
	.p2align	6
.LBB2_332:                              ;   Parent Loop BB2_289 Depth=1
                                        ; =>  This Inner Loop Header: Depth=2
	s_delay_alu instid0(SALU_CYCLE_1)
	v_add_co_u32 v23, vcc_lo, v25, s4
	v_add_co_ci_u32_e32 v24, vcc_lo, s5, v26, vcc_lo
	s_add_u32 s4, s4, 1
	s_addc_u32 s5, s5, 0
	v_cmp_eq_u32_e32 vcc_lo, s4, v9
	flat_load_u8 v23, v[23:24]
	s_waitcnt vmcnt(0) lgkmcnt(0)
	v_dual_mov_b32 v24, s12 :: v_dual_and_b32 v23, 0xffff, v23
	s_delay_alu instid0(VALU_DEP_1) | instskip(SKIP_3) | instid1(VALU_DEP_1)
	v_lshlrev_b64 v[23:24], s0, v[23:24]
	s_add_u32 s0, s0, 8
	s_addc_u32 s1, s1, 0
	s_or_b32 s13, vcc_lo, s13
	v_or_b32_e32 v22, v24, v22
	s_delay_alu instid0(VALU_DEP_2)
	v_or_b32_e32 v21, v23, v21
	s_and_not1_b32 exec_lo, exec_lo, s13
	s_cbranch_execnz .LBB2_332
; %bb.333:                              ;   in Loop: Header=BB2_289 Depth=1
	s_or_b32 exec_lo, exec_lo, s13
.LBB2_334:                              ;   in Loop: Header=BB2_289 Depth=1
	s_delay_alu instid0(SALU_CYCLE_1)
	s_or_b32 exec_lo, exec_lo, s7
	s_mov_b32 s1, 0
                                        ; implicit-def: $vgpr9
.LBB2_335:                              ;   in Loop: Header=BB2_289 Depth=1
	s_or_saveexec_b32 s0, s6
	v_mov_b32_e32 v27, s1
	s_xor_b32 exec_lo, exec_lo, s0
	s_cbranch_execz .LBB2_337
; %bb.336:                              ;   in Loop: Header=BB2_289 Depth=1
	flat_load_b64 v[21:22], v[25:26]
	v_add_co_u32 v25, vcc_lo, v25, 8
	v_add_nc_u32_e32 v27, -8, v9
	v_add_co_ci_u32_e32 v26, vcc_lo, 0, v26, vcc_lo
	s_waitcnt vmcnt(0) lgkmcnt(0)
	v_and_b32_e32 v23, 0xff, v22
	v_and_b32_e32 v24, 0xff00, v22
	;; [unrolled: 1-line block ×4, first 2 shown]
	v_or3_b32 v21, v21, 0, 0
	s_delay_alu instid0(VALU_DEP_4) | instskip(NEXT) | instid1(VALU_DEP_1)
	v_or_b32_e32 v23, v23, v24
	v_or3_b32 v22, v23, v28, v22
.LBB2_337:                              ;   in Loop: Header=BB2_289 Depth=1
	s_or_b32 exec_lo, exec_lo, s0
	s_delay_alu instid0(SALU_CYCLE_1)
	s_mov_b32 s0, exec_lo
	v_cmpx_gt_u32_e32 8, v27
	s_xor_b32 s4, exec_lo, s0
	s_cbranch_execz .LBB2_343
; %bb.338:                              ;   in Loop: Header=BB2_289 Depth=1
	v_mov_b32_e32 v23, 0
	v_mov_b32_e32 v24, 0
	s_mov_b32 s5, exec_lo
	v_cmpx_ne_u32_e32 0, v27
	s_cbranch_execz .LBB2_342
; %bb.339:                              ;   in Loop: Header=BB2_289 Depth=1
	v_mov_b32_e32 v23, 0
	v_mov_b32_e32 v24, 0
	s_mov_b64 s[0:1], 0
	s_mov_b32 s6, 0
	.p2align	6
.LBB2_340:                              ;   Parent Loop BB2_289 Depth=1
                                        ; =>  This Inner Loop Header: Depth=2
	flat_load_u8 v9, v[25:26]
	v_dual_mov_b32 v34, s12 :: v_dual_add_nc_u32 v27, -1, v27
	v_add_co_u32 v25, vcc_lo, v25, 1
	v_add_co_ci_u32_e32 v26, vcc_lo, 0, v26, vcc_lo
	s_delay_alu instid0(VALU_DEP_3) | instskip(SKIP_2) | instid1(VALU_DEP_1)
	v_cmp_eq_u32_e32 vcc_lo, 0, v27
	s_waitcnt vmcnt(0) lgkmcnt(0)
	v_and_b32_e32 v33, 0xffff, v9
	v_lshlrev_b64 v[33:34], s0, v[33:34]
	s_add_u32 s0, s0, 8
	s_addc_u32 s1, s1, 0
	s_or_b32 s6, vcc_lo, s6
	s_delay_alu instid0(VALU_DEP_1) | instskip(NEXT) | instid1(VALU_DEP_2)
	v_or_b32_e32 v24, v34, v24
	v_or_b32_e32 v23, v33, v23
	s_and_not1_b32 exec_lo, exec_lo, s6
	s_cbranch_execnz .LBB2_340
; %bb.341:                              ;   in Loop: Header=BB2_289 Depth=1
	s_or_b32 exec_lo, exec_lo, s6
.LBB2_342:                              ;   in Loop: Header=BB2_289 Depth=1
	s_delay_alu instid0(SALU_CYCLE_1)
	s_or_b32 exec_lo, exec_lo, s5
                                        ; implicit-def: $vgpr25_vgpr26
.LBB2_343:                              ;   in Loop: Header=BB2_289 Depth=1
	s_and_not1_saveexec_b32 s0, s4
	s_cbranch_execz .LBB2_345
; %bb.344:                              ;   in Loop: Header=BB2_289 Depth=1
	flat_load_b64 v[23:24], v[25:26]
	s_waitcnt vmcnt(0) lgkmcnt(0)
	v_and_b32_e32 v9, 0xff, v24
	v_and_b32_e32 v25, 0xff00, v24
	;; [unrolled: 1-line block ×4, first 2 shown]
	v_or3_b32 v23, v23, 0, 0
	s_delay_alu instid0(VALU_DEP_4) | instskip(NEXT) | instid1(VALU_DEP_1)
	v_or_b32_e32 v9, v9, v25
	v_or3_b32 v24, v9, v26, v24
.LBB2_345:                              ;   in Loop: Header=BB2_289 Depth=1
	s_or_b32 exec_lo, exec_lo, s0
	v_readfirstlane_b32 s0, v49
	v_mov_b32_e32 v33, 0
	v_mov_b32_e32 v34, 0
	s_delay_alu instid0(VALU_DEP_3) | instskip(NEXT) | instid1(VALU_DEP_1)
	v_cmp_eq_u32_e64 s0, s0, v49
	s_and_saveexec_b32 s1, s0
	s_cbranch_execz .LBB2_351
; %bb.346:                              ;   in Loop: Header=BB2_289 Depth=1
	global_load_b64 v[27:28], v10, s[2:3] offset:24 glc
	s_waitcnt vmcnt(0)
	buffer_gl1_inv
	buffer_gl0_inv
	s_clause 0x1
	global_load_b64 v[25:26], v10, s[2:3] offset:40
	global_load_b64 v[33:34], v10, s[2:3]
	s_mov_b32 s4, exec_lo
	s_waitcnt vmcnt(1)
	v_and_b32_e32 v9, v26, v28
	v_and_b32_e32 v25, v25, v27
	s_delay_alu instid0(VALU_DEP_2) | instskip(NEXT) | instid1(VALU_DEP_2)
	v_mul_lo_u32 v9, v9, 24
	v_mul_hi_u32 v26, v25, 24
	v_mul_lo_u32 v25, v25, 24
	s_delay_alu instid0(VALU_DEP_2) | instskip(SKIP_1) | instid1(VALU_DEP_2)
	v_add_nc_u32_e32 v9, v26, v9
	s_waitcnt vmcnt(0)
	v_add_co_u32 v25, vcc_lo, v33, v25
	s_delay_alu instid0(VALU_DEP_2)
	v_add_co_ci_u32_e32 v26, vcc_lo, v34, v9, vcc_lo
	global_load_b64 v[25:26], v[25:26], off glc
	s_waitcnt vmcnt(0)
	global_atomic_cmpswap_b64 v[33:34], v10, v[25:28], s[2:3] offset:24 glc
	s_waitcnt vmcnt(0)
	buffer_gl1_inv
	buffer_gl0_inv
	v_cmpx_ne_u64_e64 v[33:34], v[27:28]
	s_cbranch_execz .LBB2_350
; %bb.347:                              ;   in Loop: Header=BB2_289 Depth=1
	s_mov_b32 s5, 0
	.p2align	6
.LBB2_348:                              ;   Parent Loop BB2_289 Depth=1
                                        ; =>  This Inner Loop Header: Depth=2
	s_sleep 1
	s_clause 0x1
	global_load_b64 v[25:26], v10, s[2:3] offset:40
	global_load_b64 v[35:36], v10, s[2:3]
	v_dual_mov_b32 v27, v33 :: v_dual_mov_b32 v28, v34
	s_waitcnt vmcnt(1)
	s_delay_alu instid0(VALU_DEP_1) | instskip(SKIP_1) | instid1(VALU_DEP_1)
	v_and_b32_e32 v9, v25, v27
	s_waitcnt vmcnt(0)
	v_mad_u64_u32 v[33:34], null, v9, 24, v[35:36]
	v_and_b32_e32 v35, v26, v28
	s_delay_alu instid0(VALU_DEP_2) | instskip(NEXT) | instid1(VALU_DEP_1)
	v_mov_b32_e32 v9, v34
	v_mad_u64_u32 v[25:26], null, v35, 24, v[9:10]
	s_delay_alu instid0(VALU_DEP_1)
	v_mov_b32_e32 v34, v25
	global_load_b64 v[25:26], v[33:34], off glc
	s_waitcnt vmcnt(0)
	global_atomic_cmpswap_b64 v[33:34], v10, v[25:28], s[2:3] offset:24 glc
	s_waitcnt vmcnt(0)
	buffer_gl1_inv
	buffer_gl0_inv
	v_cmp_eq_u64_e32 vcc_lo, v[33:34], v[27:28]
	s_or_b32 s5, vcc_lo, s5
	s_delay_alu instid0(SALU_CYCLE_1)
	s_and_not1_b32 exec_lo, exec_lo, s5
	s_cbranch_execnz .LBB2_348
; %bb.349:                              ;   in Loop: Header=BB2_289 Depth=1
	s_or_b32 exec_lo, exec_lo, s5
.LBB2_350:                              ;   in Loop: Header=BB2_289 Depth=1
	s_delay_alu instid0(SALU_CYCLE_1)
	s_or_b32 exec_lo, exec_lo, s4
.LBB2_351:                              ;   in Loop: Header=BB2_289 Depth=1
	s_delay_alu instid0(SALU_CYCLE_1)
	s_or_b32 exec_lo, exec_lo, s1
	s_clause 0x1
	global_load_b64 v[35:36], v10, s[2:3] offset:40
	global_load_b128 v[25:28], v10, s[2:3]
	v_readfirstlane_b32 s4, v33
	v_readfirstlane_b32 s5, v34
	s_mov_b32 s1, exec_lo
	s_waitcnt vmcnt(1)
	v_readfirstlane_b32 s6, v35
	v_readfirstlane_b32 s7, v36
	s_delay_alu instid0(VALU_DEP_1) | instskip(NEXT) | instid1(SALU_CYCLE_1)
	s_and_b64 s[6:7], s[4:5], s[6:7]
	s_mul_i32 s13, s7, 24
	s_mul_hi_u32 s14, s6, 24
	s_mul_i32 s15, s6, 24
	s_add_i32 s14, s14, s13
	s_waitcnt vmcnt(0)
	v_add_co_u32 v33, vcc_lo, v25, s15
	v_add_co_ci_u32_e32 v34, vcc_lo, s14, v26, vcc_lo
	s_and_saveexec_b32 s13, s0
	s_cbranch_execz .LBB2_353
; %bb.352:                              ;   in Loop: Header=BB2_289 Depth=1
	v_mov_b32_e32 v9, s1
	global_store_b128 v[33:34], v[9:12], off offset:8
.LBB2_353:                              ;   in Loop: Header=BB2_289 Depth=1
	s_or_b32 exec_lo, exec_lo, s13
	v_cmp_lt_u64_e32 vcc_lo, 56, v[29:30]
	v_or_b32_e32 v9, 0, v1
	v_or_b32_e32 v35, v0, v4
	v_lshl_add_u32 v36, v31, 2, 28
	s_lshl_b64 s[6:7], s[6:7], 12
	s_delay_alu instid0(SALU_CYCLE_1) | instskip(NEXT) | instid1(VALU_DEP_1)
	v_add_co_u32 v27, s1, v27, s6
	v_add_co_ci_u32_e64 v28, s1, s7, v28, s1
	v_dual_cndmask_b32 v1, v9, v1 :: v_dual_cndmask_b32 v0, v35, v0
	v_and_b32_e32 v9, 0x1e0, v36
	s_delay_alu instid0(VALU_DEP_4) | instskip(NEXT) | instid1(VALU_DEP_4)
	v_readfirstlane_b32 s6, v27
	v_readfirstlane_b32 s7, v28
	s_delay_alu instid0(VALU_DEP_3)
	v_and_or_b32 v0, 0xffffff1f, v0, v9
	s_clause 0x3
	global_store_b128 v48, v[0:3], s[6:7]
	global_store_b128 v48, v[13:16], s[6:7] offset:16
	global_store_b128 v48, v[17:20], s[6:7] offset:32
	;; [unrolled: 1-line block ×3, first 2 shown]
	s_and_saveexec_b32 s1, s0
	s_cbranch_execz .LBB2_361
; %bb.354:                              ;   in Loop: Header=BB2_289 Depth=1
	s_clause 0x1
	global_load_b64 v[17:18], v10, s[2:3] offset:32 glc
	global_load_b64 v[0:1], v10, s[2:3] offset:40
	v_dual_mov_b32 v15, s4 :: v_dual_mov_b32 v16, s5
	s_waitcnt vmcnt(0)
	v_readfirstlane_b32 s6, v0
	v_readfirstlane_b32 s7, v1
	s_delay_alu instid0(VALU_DEP_1) | instskip(NEXT) | instid1(SALU_CYCLE_1)
	s_and_b64 s[6:7], s[6:7], s[4:5]
	s_mul_i32 s7, s7, 24
	s_mul_hi_u32 s13, s6, 24
	s_mul_i32 s6, s6, 24
	s_add_i32 s13, s13, s7
	v_add_co_u32 v13, vcc_lo, v25, s6
	v_add_co_ci_u32_e32 v14, vcc_lo, s13, v26, vcc_lo
	s_mov_b32 s6, exec_lo
	global_store_b64 v[13:14], v[17:18], off
	s_waitcnt_vscnt null, 0x0
	global_atomic_cmpswap_b64 v[2:3], v10, v[15:18], s[2:3] offset:32 glc
	s_waitcnt vmcnt(0)
	v_cmpx_ne_u64_e64 v[2:3], v[17:18]
	s_cbranch_execz .LBB2_357
; %bb.355:                              ;   in Loop: Header=BB2_289 Depth=1
	s_mov_b32 s7, 0
.LBB2_356:                              ;   Parent Loop BB2_289 Depth=1
                                        ; =>  This Inner Loop Header: Depth=2
	v_dual_mov_b32 v0, s4 :: v_dual_mov_b32 v1, s5
	s_sleep 1
	global_store_b64 v[13:14], v[2:3], off
	s_waitcnt_vscnt null, 0x0
	global_atomic_cmpswap_b64 v[0:1], v10, v[0:3], s[2:3] offset:32 glc
	s_waitcnt vmcnt(0)
	v_cmp_eq_u64_e32 vcc_lo, v[0:1], v[2:3]
	v_dual_mov_b32 v3, v1 :: v_dual_mov_b32 v2, v0
	s_or_b32 s7, vcc_lo, s7
	s_delay_alu instid0(SALU_CYCLE_1)
	s_and_not1_b32 exec_lo, exec_lo, s7
	s_cbranch_execnz .LBB2_356
.LBB2_357:                              ;   in Loop: Header=BB2_289 Depth=1
	s_or_b32 exec_lo, exec_lo, s6
	global_load_b64 v[0:1], v10, s[2:3] offset:16
	s_mov_b32 s7, exec_lo
	s_mov_b32 s6, exec_lo
	v_mbcnt_lo_u32_b32 v2, s7, 0
	s_delay_alu instid0(VALU_DEP_1)
	v_cmpx_eq_u32_e32 0, v2
	s_cbranch_execz .LBB2_359
; %bb.358:                              ;   in Loop: Header=BB2_289 Depth=1
	s_bcnt1_i32_b32 s7, s7
	s_delay_alu instid0(SALU_CYCLE_1)
	v_mov_b32_e32 v9, s7
	s_waitcnt vmcnt(0)
	global_atomic_add_u64 v[0:1], v[9:10], off offset:8
.LBB2_359:                              ;   in Loop: Header=BB2_289 Depth=1
	s_or_b32 exec_lo, exec_lo, s6
	s_waitcnt vmcnt(0)
	global_load_b64 v[2:3], v[0:1], off offset:16
	s_waitcnt vmcnt(0)
	v_cmp_eq_u64_e32 vcc_lo, 0, v[2:3]
	s_cbranch_vccnz .LBB2_361
; %bb.360:                              ;   in Loop: Header=BB2_289 Depth=1
	global_load_b32 v9, v[0:1], off offset:24
	s_waitcnt vmcnt(0)
	v_and_b32_e32 v0, 0xffffff, v9
	s_waitcnt_vscnt null, 0x0
	global_store_b64 v[2:3], v[9:10], off
	v_readfirstlane_b32 m0, v0
	s_sendmsg sendmsg(MSG_INTERRUPT)
.LBB2_361:                              ;   in Loop: Header=BB2_289 Depth=1
	s_or_b32 exec_lo, exec_lo, s1
	v_add_co_u32 v0, vcc_lo, v27, v48
	v_add_co_ci_u32_e32 v1, vcc_lo, 0, v28, vcc_lo
	s_branch .LBB2_365
	.p2align	6
.LBB2_362:                              ;   in Loop: Header=BB2_365 Depth=2
	s_or_b32 exec_lo, exec_lo, s1
	s_delay_alu instid0(VALU_DEP_1) | instskip(NEXT) | instid1(VALU_DEP_1)
	v_readfirstlane_b32 s1, v2
	s_cmp_eq_u32 s1, 0
	s_cbranch_scc1 .LBB2_364
; %bb.363:                              ;   in Loop: Header=BB2_365 Depth=2
	s_sleep 1
	s_cbranch_execnz .LBB2_365
	s_branch .LBB2_367
	.p2align	6
.LBB2_364:                              ;   in Loop: Header=BB2_289 Depth=1
	s_branch .LBB2_367
.LBB2_365:                              ;   Parent Loop BB2_289 Depth=1
                                        ; =>  This Inner Loop Header: Depth=2
	v_mov_b32_e32 v2, 1
	s_and_saveexec_b32 s1, s0
	s_cbranch_execz .LBB2_362
; %bb.366:                              ;   in Loop: Header=BB2_365 Depth=2
	global_load_b32 v2, v[33:34], off offset:20 glc
	s_waitcnt vmcnt(0)
	buffer_gl1_inv
	buffer_gl0_inv
	v_and_b32_e32 v2, 1, v2
	s_branch .LBB2_362
.LBB2_367:                              ;   in Loop: Header=BB2_289 Depth=1
	global_load_b128 v[0:3], v[0:1], off
	s_and_saveexec_b32 s1, s0
	s_cbranch_execz .LBB2_288
; %bb.368:                              ;   in Loop: Header=BB2_289 Depth=1
	s_clause 0x2
	global_load_b64 v[2:3], v10, s[2:3] offset:40
	global_load_b64 v[17:18], v10, s[2:3] offset:24 glc
	global_load_b64 v[15:16], v10, s[2:3]
	s_waitcnt vmcnt(2)
	v_add_co_u32 v9, vcc_lo, v2, 1
	v_add_co_ci_u32_e32 v19, vcc_lo, 0, v3, vcc_lo
	s_delay_alu instid0(VALU_DEP_2) | instskip(NEXT) | instid1(VALU_DEP_2)
	v_add_co_u32 v13, vcc_lo, v9, s4
	v_add_co_ci_u32_e32 v14, vcc_lo, s5, v19, vcc_lo
	s_delay_alu instid0(VALU_DEP_1) | instskip(SKIP_1) | instid1(VALU_DEP_1)
	v_cmp_eq_u64_e32 vcc_lo, 0, v[13:14]
	v_dual_cndmask_b32 v14, v14, v19 :: v_dual_cndmask_b32 v13, v13, v9
	v_and_b32_e32 v3, v14, v3
	s_delay_alu instid0(VALU_DEP_2) | instskip(NEXT) | instid1(VALU_DEP_2)
	v_and_b32_e32 v2, v13, v2
	v_mul_lo_u32 v3, v3, 24
	s_delay_alu instid0(VALU_DEP_2) | instskip(SKIP_1) | instid1(VALU_DEP_2)
	v_mul_hi_u32 v9, v2, 24
	v_mul_lo_u32 v2, v2, 24
	v_add_nc_u32_e32 v3, v9, v3
	s_waitcnt vmcnt(0)
	s_delay_alu instid0(VALU_DEP_2) | instskip(SKIP_1) | instid1(VALU_DEP_3)
	v_add_co_u32 v2, vcc_lo, v15, v2
	v_mov_b32_e32 v15, v17
	v_add_co_ci_u32_e32 v3, vcc_lo, v16, v3, vcc_lo
	v_mov_b32_e32 v16, v18
	global_store_b64 v[2:3], v[17:18], off
	s_waitcnt_vscnt null, 0x0
	global_atomic_cmpswap_b64 v[15:16], v10, v[13:16], s[2:3] offset:24 glc
	s_waitcnt vmcnt(0)
	v_cmp_ne_u64_e32 vcc_lo, v[15:16], v[17:18]
	s_and_b32 exec_lo, exec_lo, vcc_lo
	s_cbranch_execz .LBB2_288
; %bb.369:                              ;   in Loop: Header=BB2_289 Depth=1
	s_mov_b32 s0, 0
.LBB2_370:                              ;   Parent Loop BB2_289 Depth=1
                                        ; =>  This Inner Loop Header: Depth=2
	s_sleep 1
	global_store_b64 v[2:3], v[15:16], off
	s_waitcnt_vscnt null, 0x0
	global_atomic_cmpswap_b64 v[17:18], v10, v[13:16], s[2:3] offset:24 glc
	s_waitcnt vmcnt(0)
	v_cmp_eq_u64_e32 vcc_lo, v[17:18], v[15:16]
	v_dual_mov_b32 v15, v17 :: v_dual_mov_b32 v16, v18
	s_or_b32 s0, vcc_lo, s0
	s_delay_alu instid0(SALU_CYCLE_1)
	s_and_not1_b32 exec_lo, exec_lo, s0
	s_cbranch_execnz .LBB2_370
	s_branch .LBB2_288
.LBB2_371:
	s_or_b32 exec_lo, exec_lo, s11
                                        ; implicit-def: $vgpr48
                                        ; implicit-def: $vgpr49
.LBB2_372:
	s_and_not1_saveexec_b32 s1, s10
	s_cbranch_execz .LBB2_400
; %bb.373:
	v_readfirstlane_b32 s0, v49
	s_waitcnt vmcnt(0)
	v_mov_b32_e32 v3, 0
	v_mov_b32_e32 v4, 0
	s_delay_alu instid0(VALU_DEP_3) | instskip(NEXT) | instid1(VALU_DEP_1)
	v_cmp_eq_u32_e64 s0, s0, v49
	s_and_saveexec_b32 s4, s0
	s_cbranch_execz .LBB2_379
; %bb.374:
	v_mov_b32_e32 v2, 0
	s_mov_b32 s5, exec_lo
	global_load_b64 v[5:6], v2, s[2:3] offset:24 glc
	s_waitcnt vmcnt(0)
	buffer_gl1_inv
	buffer_gl0_inv
	s_clause 0x1
	global_load_b64 v[3:4], v2, s[2:3] offset:40
	global_load_b64 v[9:10], v2, s[2:3]
	s_waitcnt vmcnt(1)
	v_and_b32_e32 v3, v3, v5
	v_and_b32_e32 v4, v4, v6
	s_delay_alu instid0(VALU_DEP_2) | instskip(NEXT) | instid1(VALU_DEP_2)
	v_mul_hi_u32 v11, v3, 24
	v_mul_lo_u32 v4, v4, 24
	v_mul_lo_u32 v3, v3, 24
	s_delay_alu instid0(VALU_DEP_2) | instskip(SKIP_1) | instid1(VALU_DEP_2)
	v_add_nc_u32_e32 v4, v11, v4
	s_waitcnt vmcnt(0)
	v_add_co_u32 v3, vcc_lo, v9, v3
	s_delay_alu instid0(VALU_DEP_2)
	v_add_co_ci_u32_e32 v4, vcc_lo, v10, v4, vcc_lo
	global_load_b64 v[3:4], v[3:4], off glc
	s_waitcnt vmcnt(0)
	global_atomic_cmpswap_b64 v[3:4], v2, v[3:6], s[2:3] offset:24 glc
	s_waitcnt vmcnt(0)
	buffer_gl1_inv
	buffer_gl0_inv
	v_cmpx_ne_u64_e64 v[3:4], v[5:6]
	s_cbranch_execz .LBB2_378
; %bb.375:
	s_mov_b32 s6, 0
	.p2align	6
.LBB2_376:                              ; =>This Inner Loop Header: Depth=1
	s_sleep 1
	s_clause 0x1
	global_load_b64 v[9:10], v2, s[2:3] offset:40
	global_load_b64 v[11:12], v2, s[2:3]
	v_dual_mov_b32 v6, v4 :: v_dual_mov_b32 v5, v3
	s_waitcnt vmcnt(1)
	s_delay_alu instid0(VALU_DEP_1) | instskip(SKIP_1) | instid1(VALU_DEP_1)
	v_and_b32_e32 v9, v9, v5
	s_waitcnt vmcnt(0)
	v_mad_u64_u32 v[3:4], null, v9, 24, v[11:12]
	v_and_b32_e32 v11, v10, v6
	s_delay_alu instid0(VALU_DEP_1) | instskip(NEXT) | instid1(VALU_DEP_1)
	v_mad_u64_u32 v[9:10], null, v11, 24, v[4:5]
	v_mov_b32_e32 v4, v9
	global_load_b64 v[3:4], v[3:4], off glc
	s_waitcnt vmcnt(0)
	global_atomic_cmpswap_b64 v[3:4], v2, v[3:6], s[2:3] offset:24 glc
	s_waitcnt vmcnt(0)
	buffer_gl1_inv
	buffer_gl0_inv
	v_cmp_eq_u64_e32 vcc_lo, v[3:4], v[5:6]
	s_or_b32 s6, vcc_lo, s6
	s_delay_alu instid0(SALU_CYCLE_1)
	s_and_not1_b32 exec_lo, exec_lo, s6
	s_cbranch_execnz .LBB2_376
; %bb.377:
	s_or_b32 exec_lo, exec_lo, s6
.LBB2_378:
	s_delay_alu instid0(SALU_CYCLE_1)
	s_or_b32 exec_lo, exec_lo, s5
.LBB2_379:
	s_delay_alu instid0(SALU_CYCLE_1)
	s_or_b32 exec_lo, exec_lo, s4
	v_mov_b32_e32 v2, 0
	v_readfirstlane_b32 s4, v3
	v_readfirstlane_b32 s5, v4
	s_mov_b32 s10, exec_lo
	s_clause 0x1
	global_load_b64 v[5:6], v2, s[2:3] offset:40
	global_load_b128 v[9:12], v2, s[2:3]
	s_waitcnt vmcnt(1)
	v_readfirstlane_b32 s6, v5
	v_readfirstlane_b32 s7, v6
	s_delay_alu instid0(VALU_DEP_1) | instskip(NEXT) | instid1(SALU_CYCLE_1)
	s_and_b64 s[6:7], s[4:5], s[6:7]
	s_mul_i32 s11, s7, 24
	s_mul_hi_u32 s12, s6, 24
	s_mul_i32 s13, s6, 24
	s_add_i32 s12, s12, s11
	s_waitcnt vmcnt(0)
	v_add_co_u32 v4, vcc_lo, v9, s13
	v_add_co_ci_u32_e32 v5, vcc_lo, s12, v10, vcc_lo
	s_and_saveexec_b32 s11, s0
	s_cbranch_execz .LBB2_381
; %bb.380:
	v_dual_mov_b32 v13, s10 :: v_dual_mov_b32 v14, v2
	v_dual_mov_b32 v15, 2 :: v_dual_mov_b32 v16, 1
	global_store_b128 v[4:5], v[13:16], off offset:8
.LBB2_381:
	s_or_b32 exec_lo, exec_lo, s11
	s_lshl_b64 s[6:7], s[6:7], 12
	s_mov_b32 s12, 0
	v_add_co_u32 v6, vcc_lo, v11, s6
	v_add_co_ci_u32_e32 v12, vcc_lo, s7, v12, vcc_lo
	s_mov_b32 s15, s12
	s_delay_alu instid0(VALU_DEP_2)
	v_add_co_u32 v11, vcc_lo, v6, v48
	s_mov_b32 s13, s12
	s_mov_b32 s14, s12
	v_and_or_b32 v0, 0xffffff1f, v0, 32
	v_dual_mov_b32 v3, v2 :: v_dual_mov_b32 v16, s15
	v_readfirstlane_b32 s6, v6
	v_readfirstlane_b32 s7, v12
	v_add_co_ci_u32_e32 v12, vcc_lo, 0, v12, vcc_lo
	v_dual_mov_b32 v15, s14 :: v_dual_mov_b32 v14, s13
	v_mov_b32_e32 v13, s12
	s_clause 0x3
	global_store_b128 v48, v[0:3], s[6:7]
	global_store_b128 v48, v[13:16], s[6:7] offset:16
	global_store_b128 v48, v[13:16], s[6:7] offset:32
	;; [unrolled: 1-line block ×3, first 2 shown]
	s_and_saveexec_b32 s6, s0
	s_cbranch_execz .LBB2_389
; %bb.382:
	v_dual_mov_b32 v6, 0 :: v_dual_mov_b32 v13, s4
	v_mov_b32_e32 v14, s5
	s_clause 0x1
	global_load_b64 v[15:16], v6, s[2:3] offset:32 glc
	global_load_b64 v[0:1], v6, s[2:3] offset:40
	s_waitcnt vmcnt(0)
	v_readfirstlane_b32 s10, v0
	v_readfirstlane_b32 s11, v1
	s_delay_alu instid0(VALU_DEP_1) | instskip(NEXT) | instid1(SALU_CYCLE_1)
	s_and_b64 s[10:11], s[10:11], s[4:5]
	s_mul_i32 s7, s11, 24
	s_mul_hi_u32 s11, s10, 24
	s_mul_i32 s10, s10, 24
	s_add_i32 s11, s11, s7
	v_add_co_u32 v9, vcc_lo, v9, s10
	v_add_co_ci_u32_e32 v10, vcc_lo, s11, v10, vcc_lo
	s_mov_b32 s7, exec_lo
	global_store_b64 v[9:10], v[15:16], off
	s_waitcnt_vscnt null, 0x0
	global_atomic_cmpswap_b64 v[2:3], v6, v[13:16], s[2:3] offset:32 glc
	s_waitcnt vmcnt(0)
	v_cmpx_ne_u64_e64 v[2:3], v[15:16]
	s_cbranch_execz .LBB2_385
; %bb.383:
	s_mov_b32 s10, 0
.LBB2_384:                              ; =>This Inner Loop Header: Depth=1
	v_dual_mov_b32 v0, s4 :: v_dual_mov_b32 v1, s5
	s_sleep 1
	global_store_b64 v[9:10], v[2:3], off
	s_waitcnt_vscnt null, 0x0
	global_atomic_cmpswap_b64 v[0:1], v6, v[0:3], s[2:3] offset:32 glc
	s_waitcnt vmcnt(0)
	v_cmp_eq_u64_e32 vcc_lo, v[0:1], v[2:3]
	v_dual_mov_b32 v3, v1 :: v_dual_mov_b32 v2, v0
	s_or_b32 s10, vcc_lo, s10
	s_delay_alu instid0(SALU_CYCLE_1)
	s_and_not1_b32 exec_lo, exec_lo, s10
	s_cbranch_execnz .LBB2_384
.LBB2_385:
	s_or_b32 exec_lo, exec_lo, s7
	v_mov_b32_e32 v3, 0
	s_mov_b32 s10, exec_lo
	s_mov_b32 s7, exec_lo
	v_mbcnt_lo_u32_b32 v2, s10, 0
	global_load_b64 v[0:1], v3, s[2:3] offset:16
	v_cmpx_eq_u32_e32 0, v2
	s_cbranch_execz .LBB2_387
; %bb.386:
	s_bcnt1_i32_b32 s10, s10
	s_delay_alu instid0(SALU_CYCLE_1)
	v_mov_b32_e32 v2, s10
	s_waitcnt vmcnt(0)
	global_atomic_add_u64 v[0:1], v[2:3], off offset:8
.LBB2_387:
	s_or_b32 exec_lo, exec_lo, s7
	s_waitcnt vmcnt(0)
	global_load_b64 v[2:3], v[0:1], off offset:16
	s_waitcnt vmcnt(0)
	v_cmp_eq_u64_e32 vcc_lo, 0, v[2:3]
	s_cbranch_vccnz .LBB2_389
; %bb.388:
	global_load_b32 v0, v[0:1], off offset:24
	s_waitcnt vmcnt(0)
	v_dual_mov_b32 v1, 0 :: v_dual_and_b32 v6, 0xffffff, v0
	s_waitcnt_vscnt null, 0x0
	global_store_b64 v[2:3], v[0:1], off
	v_readfirstlane_b32 m0, v6
	s_sendmsg sendmsg(MSG_INTERRUPT)
.LBB2_389:
	s_or_b32 exec_lo, exec_lo, s6
	s_branch .LBB2_393
	.p2align	6
.LBB2_390:                              ;   in Loop: Header=BB2_393 Depth=1
	s_or_b32 exec_lo, exec_lo, s6
	s_delay_alu instid0(VALU_DEP_1) | instskip(NEXT) | instid1(VALU_DEP_1)
	v_readfirstlane_b32 s6, v0
	s_cmp_eq_u32 s6, 0
	s_cbranch_scc1 .LBB2_392
; %bb.391:                              ;   in Loop: Header=BB2_393 Depth=1
	s_sleep 1
	s_cbranch_execnz .LBB2_393
	s_branch .LBB2_395
	.p2align	6
.LBB2_392:
	s_branch .LBB2_395
.LBB2_393:                              ; =>This Inner Loop Header: Depth=1
	v_mov_b32_e32 v0, 1
	s_and_saveexec_b32 s6, s0
	s_cbranch_execz .LBB2_390
; %bb.394:                              ;   in Loop: Header=BB2_393 Depth=1
	global_load_b32 v0, v[4:5], off offset:20 glc
	s_waitcnt vmcnt(0)
	buffer_gl1_inv
	buffer_gl0_inv
	v_and_b32_e32 v0, 1, v0
	s_branch .LBB2_390
.LBB2_395:
	global_load_b64 v[0:1], v[11:12], off
	s_and_saveexec_b32 s6, s0
	s_cbranch_execz .LBB2_399
; %bb.396:
	v_mov_b32_e32 v6, 0
	s_clause 0x2
	global_load_b64 v[4:5], v6, s[2:3] offset:40
	global_load_b64 v[11:12], v6, s[2:3] offset:24 glc
	global_load_b64 v[9:10], v6, s[2:3]
	s_waitcnt vmcnt(2)
	v_add_co_u32 v13, vcc_lo, v4, 1
	v_add_co_ci_u32_e32 v14, vcc_lo, 0, v5, vcc_lo
	s_delay_alu instid0(VALU_DEP_2) | instskip(NEXT) | instid1(VALU_DEP_2)
	v_add_co_u32 v2, vcc_lo, v13, s4
	v_add_co_ci_u32_e32 v3, vcc_lo, s5, v14, vcc_lo
	s_delay_alu instid0(VALU_DEP_1) | instskip(SKIP_1) | instid1(VALU_DEP_1)
	v_cmp_eq_u64_e32 vcc_lo, 0, v[2:3]
	v_dual_cndmask_b32 v3, v3, v14 :: v_dual_cndmask_b32 v2, v2, v13
	v_and_b32_e32 v5, v3, v5
	s_delay_alu instid0(VALU_DEP_2) | instskip(NEXT) | instid1(VALU_DEP_2)
	v_and_b32_e32 v4, v2, v4
	v_mul_lo_u32 v5, v5, 24
	s_delay_alu instid0(VALU_DEP_2) | instskip(SKIP_1) | instid1(VALU_DEP_2)
	v_mul_hi_u32 v13, v4, 24
	v_mul_lo_u32 v4, v4, 24
	v_add_nc_u32_e32 v5, v13, v5
	s_waitcnt vmcnt(0)
	s_delay_alu instid0(VALU_DEP_2) | instskip(SKIP_1) | instid1(VALU_DEP_3)
	v_add_co_u32 v9, vcc_lo, v9, v4
	v_mov_b32_e32 v4, v11
	v_add_co_ci_u32_e32 v10, vcc_lo, v10, v5, vcc_lo
	v_mov_b32_e32 v5, v12
	global_store_b64 v[9:10], v[11:12], off
	s_waitcnt_vscnt null, 0x0
	global_atomic_cmpswap_b64 v[4:5], v6, v[2:5], s[2:3] offset:24 glc
	s_waitcnt vmcnt(0)
	v_cmp_ne_u64_e32 vcc_lo, v[4:5], v[11:12]
	s_and_b32 exec_lo, exec_lo, vcc_lo
	s_cbranch_execz .LBB2_399
; %bb.397:
	s_mov_b32 s0, 0
.LBB2_398:                              ; =>This Inner Loop Header: Depth=1
	s_sleep 1
	global_store_b64 v[9:10], v[4:5], off
	s_waitcnt_vscnt null, 0x0
	global_atomic_cmpswap_b64 v[11:12], v6, v[2:5], s[2:3] offset:24 glc
	s_waitcnt vmcnt(0)
	v_cmp_eq_u64_e32 vcc_lo, v[11:12], v[4:5]
	v_dual_mov_b32 v4, v11 :: v_dual_mov_b32 v5, v12
	s_or_b32 s0, vcc_lo, s0
	s_delay_alu instid0(SALU_CYCLE_1)
	s_and_not1_b32 exec_lo, exec_lo, s0
	s_cbranch_execnz .LBB2_398
.LBB2_399:
	s_or_b32 exec_lo, exec_lo, s6
.LBB2_400:
	s_delay_alu instid0(SALU_CYCLE_1)
	s_or_b32 exec_lo, exec_lo, s1
	s_waitcnt vmcnt(0)
	v_dual_mov_b32 v2, v7 :: v_dual_mov_b32 v3, v8
	s_mov_b32 s0, 0
.LBB2_401:                              ; =>This Inner Loop Header: Depth=1
	flat_load_u8 v6, v[2:3]
	v_add_co_u32 v4, vcc_lo, v2, 1
	v_add_co_ci_u32_e32 v5, vcc_lo, 0, v3, vcc_lo
	s_delay_alu instid0(VALU_DEP_1) | instskip(SKIP_3) | instid1(SALU_CYCLE_1)
	v_dual_mov_b32 v2, v4 :: v_dual_mov_b32 v3, v5
	s_waitcnt vmcnt(0) lgkmcnt(0)
	v_cmp_eq_u16_e32 vcc_lo, 0, v6
	s_or_b32 s0, vcc_lo, s0
	s_and_not1_b32 exec_lo, exec_lo, s0
	s_cbranch_execnz .LBB2_401
; %bb.402:
	s_or_b32 exec_lo, exec_lo, s0
	v_sub_nc_u32_e32 v4, v4, v7
	v_dual_mov_b32 v2, v7 :: v_dual_mov_b32 v3, v8
	v_mov_b32_e32 v6, 1
	s_getpc_b64 s[0:1]
	s_add_u32 s0, s0, __ockl_fprintf_append_string_n@rel32@lo+4
	s_addc_u32 s1, s1, __ockl_fprintf_append_string_n@rel32@hi+12
	v_ashrrev_i32_e32 v5, 31, v4
	s_swappc_b64 s[30:31], s[0:1]
	s_trap 2
	s_sendmsg_rtn_b32 s0, sendmsg(MSG_RTN_GET_DOORBELL)
	s_mov_b32 ttmp2, m0
	s_waitcnt lgkmcnt(0)
	s_and_b32 s0, s0, 0x3ff
	s_delay_alu instid0(SALU_CYCLE_1) | instskip(NEXT) | instid1(SALU_CYCLE_1)
	s_bitset1_b32 s0, 10
	s_mov_b32 m0, s0
	s_sendmsg sendmsg(MSG_INTERRUPT)
	s_mov_b32 m0, ttmp2
.LBB2_403:                              ; =>This Inner Loop Header: Depth=1
	s_sethalt 5
	s_branch .LBB2_403
.Lfunc_end2:
	.size	__assert_fail, .Lfunc_end2-__assert_fail
                                        ; -- End function
	.section	.AMDGPU.csdata,"",@progbits
; Function info:
; codeLenInByte = 17116
; NumSgprs: 36
; NumVgprs: 53
; ScratchSize: 64
; MemoryBound: 0
	.section	.text._ZL29soft_max_f32_parallelize_colsPKfPfS1_S1_15soft_max_params,"axG",@progbits,_ZL29soft_max_f32_parallelize_colsPKfPfS1_S1_15soft_max_params,comdat
	.globl	_ZL29soft_max_f32_parallelize_colsPKfPfS1_S1_15soft_max_params ; -- Begin function _ZL29soft_max_f32_parallelize_colsPKfPfS1_S1_15soft_max_params
	.p2align	8
	.type	_ZL29soft_max_f32_parallelize_colsPKfPfS1_S1_15soft_max_params,@function
_ZL29soft_max_f32_parallelize_colsPKfPfS1_S1_15soft_max_params: ; @_ZL29soft_max_f32_parallelize_colsPKfPfS1_S1_15soft_max_params
; %bb.0:
	s_clause 0x1
	s_load_b128 s[4:7], s[0:1], 0x50
	s_load_b64 s[8:9], s[0:1], 0x60
	s_add_u32 s2, s0, 32
	s_addc_u32 s3, s1, 0
	s_mov_b32 s10, s15
	s_mov_b32 s32, 0
	s_waitcnt lgkmcnt(0)
	s_mul_i32 s5, s6, s5
	s_mul_hi_u32 s11, s6, s4
	s_mul_i32 s7, s7, s4
	s_mul_i32 s4, s6, s4
	s_add_i32 s5, s11, s5
	s_mul_i32 s6, s4, s9
	s_mul_hi_u32 s9, s4, s8
	s_add_i32 s5, s5, s7
	s_add_i32 s6, s9, s6
	s_mul_i32 s5, s5, s8
	s_mul_i32 s14, s4, s8
	s_add_i32 s15, s6, s5
	s_delay_alu instid0(SALU_CYCLE_1) | instskip(NEXT) | instid1(VALU_DEP_1)
	v_cmp_lt_i64_e64 s4, s[14:15], 1
	s_and_b32 vcc_lo, exec_lo, s4
	s_cbranch_vccnz .LBB3_126
; %bb.1:
	s_load_b32 s12, s[0:1], 0xa0
	s_add_u32 s24, s0, 0xa0
	s_addc_u32 s25, s1, 0
	v_dual_mov_b32 v12, 0 :: v_dual_and_b32 v13, 0x3ff, v0
	v_mbcnt_lo_u32_b32 v1, -1, 0
	v_bfe_u32 v2, v0, 20, 10
	v_bfe_u32 v0, v0, 10, 10
	s_mov_b32 s11, 0
	v_lshrrev_b32_e32 v14, 3, v13
	v_xor_b32_e32 v3, 16, v1
	v_xor_b32_e32 v4, 8, v1
	;; [unrolled: 1-line block ×3, first 2 shown]
	v_or3_b32 v0, v0, v2, v13
	v_xor_b32_e32 v7, 2, v1
	v_cmp_gt_i32_e32 vcc_lo, 32, v3
	v_lshlrev_b32_e32 v2, 2, v13
	v_xor_b32_e32 v8, 1, v1
	v_cndmask_b32_e32 v3, v1, v3, vcc_lo
	s_waitcnt lgkmcnt(0)
	s_cmp_lt_u32 s10, s12
	v_cmp_gt_i32_e32 vcc_lo, 32, v4
	s_cselect_b32 s4, 12, 18
	v_and_b32_e32 v9, 31, v13
	s_add_u32 s4, s24, s4
	s_addc_u32 s5, s25, 0
	v_cndmask_b32_e32 v4, v1, v4, vcc_lo
	global_load_u16 v6, v12, s[4:5]
	v_cmp_gt_i32_e32 vcc_lo, 32, v5
	s_load_b256 s[16:23], s[0:1], 0x0
	s_load_b64 s[26:27], s[2:3], 0x10
	v_lshlrev_b32_e32 v16, 2, v3
	v_cmp_eq_u32_e64 s4, 0, v0
	v_lshlrev_b32_e32 v17, 2, v4
	v_cndmask_b32_e32 v5, v1, v5, vcc_lo
	v_cmp_gt_i32_e32 vcc_lo, 32, v7
	s_mul_i32 s13, s12, 3
	v_cmp_gt_u32_e64 s5, s12, v13
	v_cmp_eq_u32_e64 s2, 0, v13
	v_dual_cndmask_b32 v7, v1, v7 :: v_dual_lshlrev_b32 v18, 2, v5
	v_cmp_gt_i32_e32 vcc_lo, 32, v8
	v_cmp_eq_u32_e64 s3, 0, v9
	v_lshlrev_b32_e32 v15, 2, v9
	s_delay_alu instid0(VALU_DEP_4)
	v_lshlrev_b32_e32 v19, 2, v7
	s_waitcnt lgkmcnt(0)
	v_add_co_u32 v0, s6, s20, v2
	s_waitcnt vmcnt(0)
	v_readfirstlane_b32 s7, v6
	v_mul_lo_u32 v21, s10, v6
	v_mul_lo_u32 v7, s12, v6
	v_cndmask_b32_e32 v1, v1, v8, vcc_lo
	v_lshrrev_b32_e32 v5, 5, v6
	s_cmpk_lt_u32 s7, 0x401
	s_cselect_b32 s28, -1, 0
	s_and_b32 s7, s7, 31
	s_delay_alu instid0(VALU_DEP_4) | instskip(NEXT) | instid1(VALU_DEP_4)
	v_add_nc_u32_e32 v4, v21, v13
	v_lshlrev_b32_e32 v26, 2, v7
	s_cmp_eq_u32 s7, 0
	v_lshlrev_b32_e32 v20, 2, v1
	s_cselect_b32 s29, -1, 0
	s_lshl_b64 s[8:9], s[10:11], 2
	s_and_b32 s30, s28, s29
	s_add_u32 s20, s20, s8
	v_add_co_ci_u32_e64 v1, null, s21, 0, s6
	v_add_co_u32 v2, s6, s22, v2
	s_addc_u32 s21, s21, s9
	s_add_u32 s22, s22, s8
	v_add_co_ci_u32_e64 v3, null, s23, 0, s6
	s_addc_u32 s23, s23, s9
	s_lshl_b32 s9, s12, 1
	s_add_i32 s11, s10, s13
	s_lshl_b32 s13, s12, 2
	v_cmp_lt_u32_e64 s7, v9, v5
	v_ashrrev_i32_e32 v5, 31, v4
	v_cmp_lt_u32_e64 s6, s12, v6
	s_add_i32 s12, s10, s12
	s_add_i32 s9, s10, s9
	;; [unrolled: 1-line block ×3, first 2 shown]
	v_mul_lo_u32 v22, s11, v6
	v_mul_lo_u32 v23, s9, v6
	;; [unrolled: 1-line block ×4, first 2 shown]
	v_cmp_gt_i64_e64 s8, s[26:27], v[4:5]
	v_cmp_lt_u32_e64 s9, 32, v6
	s_mov_b64 s[28:29], 0
	s_branch .LBB3_4
.LBB3_2:                                ;   in Loop: Header=BB3_4 Depth=1
                                        ; implicit-def: $sgpr28_sgpr29
.LBB3_3:                                ;   in Loop: Header=BB3_4 Depth=1
	s_delay_alu instid0(VALU_DEP_1)
	s_and_b32 vcc_lo, exec_lo, s12
	s_cbranch_vccnz .LBB3_122
.LBB3_4:                                ; =>This Loop Header: Depth=1
                                        ;     Child Loop BB3_7 Depth 2
                                        ;     Child Loop BB3_33 Depth 2
	;; [unrolled: 1-line block ×5, first 2 shown]
	s_mul_i32 s10, s28, s27
	s_mul_hi_u32 s11, s28, s26
	s_mul_i32 s12, s29, s26
	s_add_i32 s11, s11, s10
	s_mul_i32 s10, s28, s26
	s_add_i32 s11, s11, s12
	v_mov_b32_e32 v6, 0xff800000
	s_lshl_b64 s[10:11], s[10:11], 2
	s_delay_alu instid0(SALU_CYCLE_1)
	s_add_u32 s35, s16, s10
	s_addc_u32 s36, s17, s11
	s_and_saveexec_b32 s12, s8
	s_cbranch_execz .LBB3_16
; %bb.5:                                ;   in Loop: Header=BB3_4 Depth=1
	v_dual_mov_b32 v6, 0xff800000 :: v_dual_mov_b32 v7, v13
	s_mov_b32 s13, 0
	s_branch .LBB3_7
.LBB3_6:                                ;   in Loop: Header=BB3_7 Depth=2
	s_or_b32 exec_lo, exec_lo, s31
	v_add_nc_u32_e32 v4, v24, v7
	s_waitcnt vmcnt(0)
	v_max3_f32 v6, v6, v8, v10
	v_add_nc_u32_e32 v7, v7, v26
	s_delay_alu instid0(VALU_DEP_3) | instskip(NEXT) | instid1(VALU_DEP_3)
	v_ashrrev_i32_e32 v5, 31, v4
	v_max3_f32 v6, v6, v9, v11
	s_delay_alu instid0(VALU_DEP_2) | instskip(SKIP_1) | instid1(SALU_CYCLE_1)
	v_cmp_le_i64_e32 vcc_lo, s[26:27], v[4:5]
	s_or_b32 s13, vcc_lo, s13
	s_and_not1_b32 exec_lo, exec_lo, s13
	s_cbranch_execz .LBB3_15
.LBB3_7:                                ;   Parent Loop BB3_4 Depth=1
                                        ; =>  This Inner Loop Header: Depth=2
	s_delay_alu instid0(VALU_DEP_1) | instskip(SKIP_2) | instid1(VALU_DEP_2)
	v_add_nc_u32_e32 v4, v21, v7
	v_mov_b32_e32 v8, 0xff800000
	s_mov_b32 s31, exec_lo
	v_ashrrev_i32_e32 v5, 31, v4
	s_delay_alu instid0(VALU_DEP_1)
	v_cmpx_gt_i64_e64 s[26:27], v[4:5]
	s_cbranch_execz .LBB3_9
; %bb.8:                                ;   in Loop: Header=BB3_7 Depth=2
	v_lshlrev_b64 v[4:5], 2, v[4:5]
	s_delay_alu instid0(VALU_DEP_1) | instskip(NEXT) | instid1(VALU_DEP_2)
	v_add_co_u32 v4, vcc_lo, s35, v4
	v_add_co_ci_u32_e32 v5, vcc_lo, s36, v5, vcc_lo
	global_load_b32 v8, v[4:5], off
.LBB3_9:                                ;   in Loop: Header=BB3_7 Depth=2
	s_or_b32 exec_lo, exec_lo, s31
	v_dual_mov_b32 v9, 0xff800000 :: v_dual_add_nc_u32 v4, v25, v7
	v_mov_b32_e32 v10, 0xff800000
	s_mov_b32 s31, exec_lo
	s_delay_alu instid0(VALU_DEP_2) | instskip(NEXT) | instid1(VALU_DEP_1)
	v_ashrrev_i32_e32 v5, 31, v4
	v_cmpx_gt_i64_e64 s[26:27], v[4:5]
	s_cbranch_execz .LBB3_11
; %bb.10:                               ;   in Loop: Header=BB3_7 Depth=2
	v_lshlrev_b64 v[4:5], 2, v[4:5]
	s_delay_alu instid0(VALU_DEP_1) | instskip(NEXT) | instid1(VALU_DEP_2)
	v_add_co_u32 v4, vcc_lo, s35, v4
	v_add_co_ci_u32_e32 v5, vcc_lo, s36, v5, vcc_lo
	global_load_b32 v10, v[4:5], off
.LBB3_11:                               ;   in Loop: Header=BB3_7 Depth=2
	s_or_b32 exec_lo, exec_lo, s31
	v_add_nc_u32_e32 v4, v23, v7
	s_mov_b32 s31, exec_lo
	s_delay_alu instid0(VALU_DEP_1) | instskip(NEXT) | instid1(VALU_DEP_1)
	v_ashrrev_i32_e32 v5, 31, v4
	v_cmpx_gt_i64_e64 s[26:27], v[4:5]
	s_cbranch_execz .LBB3_13
; %bb.12:                               ;   in Loop: Header=BB3_7 Depth=2
	v_lshlrev_b64 v[4:5], 2, v[4:5]
	s_delay_alu instid0(VALU_DEP_1) | instskip(NEXT) | instid1(VALU_DEP_2)
	v_add_co_u32 v4, vcc_lo, s35, v4
	v_add_co_ci_u32_e32 v5, vcc_lo, s36, v5, vcc_lo
	global_load_b32 v9, v[4:5], off
.LBB3_13:                               ;   in Loop: Header=BB3_7 Depth=2
	s_or_b32 exec_lo, exec_lo, s31
	v_dual_mov_b32 v11, 0xff800000 :: v_dual_add_nc_u32 v4, v22, v7
	s_mov_b32 s31, exec_lo
	s_delay_alu instid0(VALU_DEP_1) | instskip(NEXT) | instid1(VALU_DEP_1)
	v_ashrrev_i32_e32 v5, 31, v4
	v_cmpx_gt_i64_e64 s[26:27], v[4:5]
	s_cbranch_execz .LBB3_6
; %bb.14:                               ;   in Loop: Header=BB3_7 Depth=2
	v_lshlrev_b64 v[4:5], 2, v[4:5]
	s_delay_alu instid0(VALU_DEP_1) | instskip(NEXT) | instid1(VALU_DEP_2)
	v_add_co_u32 v4, vcc_lo, s35, v4
	v_add_co_ci_u32_e32 v5, vcc_lo, s36, v5, vcc_lo
	global_load_b32 v11, v[4:5], off
	s_branch .LBB3_6
.LBB3_15:                               ;   in Loop: Header=BB3_4 Depth=1
	s_or_b32 exec_lo, exec_lo, s13
.LBB3_16:                               ;   in Loop: Header=BB3_4 Depth=1
	s_delay_alu instid0(SALU_CYCLE_1)
	s_or_b32 exec_lo, exec_lo, s12
	ds_bpermute_b32 v4, v16, v6
	s_and_not1_b32 vcc_lo, exec_lo, s9
	s_mov_b32 s12, -1
	s_waitcnt lgkmcnt(0)
	v_dual_max_f32 v5, v6, v6 :: v_dual_max_f32 v4, v4, v4
	s_delay_alu instid0(VALU_DEP_1) | instskip(SKIP_3) | instid1(VALU_DEP_1)
	v_max_f32_e32 v4, v5, v4
	ds_bpermute_b32 v5, v17, v4
	s_waitcnt lgkmcnt(0)
	v_max_f32_e32 v5, v5, v5
	v_max_f32_e32 v4, v4, v5
	ds_bpermute_b32 v5, v18, v4
	s_waitcnt lgkmcnt(0)
	v_max_f32_e32 v5, v5, v5
	s_delay_alu instid0(VALU_DEP_1) | instskip(SKIP_3) | instid1(VALU_DEP_1)
	v_max_f32_e32 v4, v4, v5
	ds_bpermute_b32 v5, v19, v4
	s_waitcnt lgkmcnt(0)
	v_max_f32_e32 v5, v5, v5
	v_max_f32_e32 v4, v4, v5
	ds_bpermute_b32 v5, v20, v4
	s_waitcnt lgkmcnt(0)
	v_max_f32_e32 v5, v5, v5
	s_delay_alu instid0(VALU_DEP_1)
	v_max_f32_e32 v4, v4, v5
	s_cbranch_vccnz .LBB3_23
; %bb.17:                               ;   in Loop: Header=BB3_4 Depth=1
	s_mov_b32 s13, 0
	s_and_b32 vcc_lo, exec_lo, s30
	s_mov_b32 s33, 0
	s_cbranch_vccz .LBB3_24
; %bb.18:                               ;   in Loop: Header=BB3_4 Depth=1
	s_and_saveexec_b32 s31, s3
	s_cbranch_execz .LBB3_20
; %bb.19:                               ;   in Loop: Header=BB3_4 Depth=1
	ds_store_b32 v14, v4
.LBB3_20:                               ;   in Loop: Header=BB3_4 Depth=1
	s_or_b32 exec_lo, exec_lo, s31
	v_mov_b32_e32 v4, 0xff800000
	s_waitcnt vmcnt(0) lgkmcnt(0)
	s_waitcnt_vscnt null, 0x0
	s_barrier
	buffer_gl0_inv
	s_and_saveexec_b32 s31, s7
	s_cbranch_execz .LBB3_22
; %bb.21:                               ;   in Loop: Header=BB3_4 Depth=1
	ds_load_b32 v4, v15
.LBB3_22:                               ;   in Loop: Header=BB3_4 Depth=1
	s_or_b32 exec_lo, exec_lo, s31
	s_waitcnt lgkmcnt(0)
	ds_bpermute_b32 v5, v16, v4
	s_mov_b32 s33, -1
	s_mov_b32 s31, -1
	s_waitcnt lgkmcnt(0)
	v_dual_max_f32 v4, v4, v4 :: v_dual_max_f32 v5, v5, v5
	s_delay_alu instid0(VALU_DEP_1) | instskip(SKIP_3) | instid1(VALU_DEP_1)
	v_max_f32_e32 v4, v4, v5
	ds_bpermute_b32 v5, v17, v4
	s_waitcnt lgkmcnt(0)
	v_max_f32_e32 v5, v5, v5
	v_max_f32_e32 v4, v4, v5
	ds_bpermute_b32 v5, v18, v4
	s_waitcnt lgkmcnt(0)
	v_max_f32_e32 v5, v5, v5
	s_delay_alu instid0(VALU_DEP_1) | instskip(SKIP_3) | instid1(VALU_DEP_1)
	v_max_f32_e32 v4, v4, v5
	ds_bpermute_b32 v5, v19, v4
	s_waitcnt lgkmcnt(0)
	v_max_f32_e32 v5, v5, v5
	v_max_f32_e32 v4, v4, v5
	ds_bpermute_b32 v5, v20, v4
	s_waitcnt lgkmcnt(0)
	v_max_f32_e32 v5, v5, v5
	s_delay_alu instid0(VALU_DEP_1)
	v_max_f32_e32 v4, v4, v5
	s_branch .LBB3_25
.LBB3_23:                               ;   in Loop: Header=BB3_4 Depth=1
	s_mov_b32 s33, -1
                                        ; implicit-def: $sgpr13
                                        ; implicit-def: $sgpr31
	s_branch .LBB3_25
.LBB3_24:                               ;   in Loop: Header=BB3_4 Depth=1
	s_mov_b32 s31, -1
.LBB3_25:                               ;   in Loop: Header=BB3_4 Depth=1
	s_and_b32 vcc_lo, exec_lo, s33
	s_mov_b32 s39, s13
	s_mov_b32 s38, s13
	;; [unrolled: 1-line block ×3, first 2 shown]
	s_cbranch_vccz .LBB3_3
; %bb.26:                               ;   in Loop: Header=BB3_4 Depth=1
	s_and_saveexec_b32 s12, s2
	s_cbranch_execz .LBB3_28
; %bb.27:                               ;   in Loop: Header=BB3_4 Depth=1
	global_store_b32 v12, v4, s[20:21]
.LBB3_28:                               ;   in Loop: Header=BB3_4 Depth=1
	s_or_b32 exec_lo, exec_lo, s12
	s_waitcnt_vscnt null, 0x0
	s_waitcnt vmcnt(0)
	buffer_gl1_inv
	buffer_gl0_inv
	s_barrier
	s_and_saveexec_b32 s31, s4
	s_cbranch_execz .LBB3_38
; %bb.29:                               ;   in Loop: Header=BB3_4 Depth=1
	s_load_b64 s[12:13], s[24:25], 0x58
	s_mov_b32 s33, exec_lo
	s_mov_b32 s34, exec_lo
	v_mbcnt_lo_u32_b32 v5, s33, 0
                                        ; implicit-def: $vgpr6
	s_waitcnt lgkmcnt(0)
	global_load_b32 v4, v12, s[12:13] offset:40
	v_cmpx_eq_u32_e32 0, v5
	s_cbranch_execz .LBB3_31
; %bb.30:                               ;   in Loop: Header=BB3_4 Depth=1
	s_bcnt1_i32_b32 s33, s33
	s_delay_alu instid0(SALU_CYCLE_1)
	v_mov_b32_e32 v6, s33
	global_atomic_add_u32 v6, v12, v6, s[12:13] offset:32 glc
.LBB3_31:                               ;   in Loop: Header=BB3_4 Depth=1
	s_or_b32 exec_lo, exec_lo, s34
	s_waitcnt vmcnt(0)
	v_readfirstlane_b32 s33, v6
	v_add_nc_u32_e32 v7, -1, v4
	s_delay_alu instid0(VALU_DEP_2) | instskip(SKIP_1) | instid1(VALU_DEP_1)
	v_add_nc_u32_e32 v5, s33, v5
	s_mov_b32 s33, exec_lo
	v_and_b32_e32 v6, 0xffff, v5
	s_delay_alu instid0(VALU_DEP_1)
	v_cmpx_ne_u32_e64 v6, v7
	s_xor_b32 s33, exec_lo, s33
	s_cbranch_execz .LBB3_35
; %bb.32:                               ;   in Loop: Header=BB3_4 Depth=1
	s_mov_b32 s34, 0
.LBB3_33:                               ;   Parent Loop BB3_4 Depth=1
                                        ; =>  This Inner Loop Header: Depth=2
	s_sleep 1
	global_load_b32 v4, v12, s[12:13] offset:32 glc
	s_waitcnt vmcnt(0)
	v_xor_b32_e32 v4, v4, v5
	s_delay_alu instid0(VALU_DEP_1) | instskip(SKIP_1) | instid1(SALU_CYCLE_1)
	v_cmp_lt_u32_e32 vcc_lo, 0xffff, v4
	s_or_b32 s34, vcc_lo, s34
	s_and_not1_b32 exec_lo, exec_lo, s34
	s_cbranch_execnz .LBB3_33
; %bb.34:                               ;   in Loop: Header=BB3_4 Depth=1
	s_or_b32 exec_lo, exec_lo, s34
                                        ; implicit-def: $vgpr4
.LBB3_35:                               ;   in Loop: Header=BB3_4 Depth=1
	s_and_not1_saveexec_b32 s33, s33
	s_cbranch_execz .LBB3_38
; %bb.36:                               ;   in Loop: Header=BB3_4 Depth=1
	s_mov_b32 s33, exec_lo
	s_delay_alu instid0(SALU_CYCLE_1) | instskip(NEXT) | instid1(VALU_DEP_1)
	v_mbcnt_lo_u32_b32 v5, s33, 0
	v_cmp_eq_u32_e32 vcc_lo, 0, v5
	s_and_b32 s34, exec_lo, vcc_lo
	s_delay_alu instid0(SALU_CYCLE_1)
	s_mov_b32 exec_lo, s34
	s_cbranch_execz .LBB3_38
; %bb.37:                               ;   in Loop: Header=BB3_4 Depth=1
	v_sub_nc_u32_e32 v4, 0x10000, v4
	s_bcnt1_i32_b32 s33, s33
	s_delay_alu instid0(VALU_DEP_1) | instid1(SALU_CYCLE_1)
	v_mul_lo_u32 v4, v4, s33
	global_atomic_add_u32 v12, v4, s[12:13] offset:32
.LBB3_38:                               ;   in Loop: Header=BB3_4 Depth=1
	s_or_b32 exec_lo, exec_lo, s31
	s_mov_b32 s37, -1
	s_mov_b32 s31, 0
	s_and_b32 vcc_lo, exec_lo, s6
	s_mov_b32 s13, 0
	s_mov_b32 s39, 0
	;; [unrolled: 1-line block ×3, first 2 shown]
	s_mov_b32 s12, -1
	s_waitcnt_vscnt null, 0x0
	s_barrier
	s_cbranch_vccz .LBB3_3
; %bb.39:                               ;   in Loop: Header=BB3_4 Depth=1
	v_mov_b32_e32 v4, 0xff800000
	s_and_saveexec_b32 s12, s5
	s_cbranch_execz .LBB3_41
; %bb.40:                               ;   in Loop: Header=BB3_4 Depth=1
	global_load_b32 v4, v[0:1], off
.LBB3_41:                               ;   in Loop: Header=BB3_4 Depth=1
	s_or_b32 exec_lo, exec_lo, s12
	s_waitcnt vmcnt(0)
	ds_bpermute_b32 v5, v16, v4
	s_mov_b32 s12, -1
	s_and_not1_b32 vcc_lo, exec_lo, s9
	s_waitcnt lgkmcnt(0)
	v_dual_max_f32 v4, v4, v4 :: v_dual_max_f32 v5, v5, v5
	s_delay_alu instid0(VALU_DEP_1) | instskip(SKIP_3) | instid1(VALU_DEP_1)
	v_max_f32_e32 v4, v4, v5
	ds_bpermute_b32 v5, v17, v4
	s_waitcnt lgkmcnt(0)
	v_max_f32_e32 v5, v5, v5
	v_max_f32_e32 v4, v4, v5
	ds_bpermute_b32 v5, v18, v4
	s_waitcnt lgkmcnt(0)
	v_max_f32_e32 v5, v5, v5
	s_delay_alu instid0(VALU_DEP_1) | instskip(SKIP_3) | instid1(VALU_DEP_1)
	v_max_f32_e32 v4, v4, v5
	ds_bpermute_b32 v5, v19, v4
	s_waitcnt lgkmcnt(0)
	v_max_f32_e32 v5, v5, v5
	v_max_f32_e32 v4, v4, v5
	ds_bpermute_b32 v5, v20, v4
	s_waitcnt lgkmcnt(0)
	v_max_f32_e32 v5, v5, v5
	s_delay_alu instid0(VALU_DEP_1)
	v_max_f32_e32 v27, v4, v5
	s_cbranch_vccnz .LBB3_48
; %bb.42:                               ;   in Loop: Header=BB3_4 Depth=1
	s_mov_b32 s37, 0
	s_and_b32 vcc_lo, exec_lo, s30
	s_mov_b32 s33, 0
	s_cbranch_vccz .LBB3_49
; %bb.43:                               ;   in Loop: Header=BB3_4 Depth=1
	s_and_saveexec_b32 s33, s3
	s_cbranch_execz .LBB3_45
; %bb.44:                               ;   in Loop: Header=BB3_4 Depth=1
	ds_store_b32 v14, v27
.LBB3_45:                               ;   in Loop: Header=BB3_4 Depth=1
	s_or_b32 exec_lo, exec_lo, s33
	v_mov_b32_e32 v4, 0xff800000
	s_waitcnt lgkmcnt(0)
	s_barrier
	buffer_gl0_inv
	s_and_saveexec_b32 s33, s7
	s_cbranch_execz .LBB3_47
; %bb.46:                               ;   in Loop: Header=BB3_4 Depth=1
	ds_load_b32 v4, v15
.LBB3_47:                               ;   in Loop: Header=BB3_4 Depth=1
	s_or_b32 exec_lo, exec_lo, s33
	s_waitcnt lgkmcnt(0)
	ds_bpermute_b32 v5, v16, v4
	s_mov_b32 s38, -1
	s_waitcnt lgkmcnt(0)
	v_dual_max_f32 v4, v4, v4 :: v_dual_max_f32 v5, v5, v5
	s_delay_alu instid0(VALU_DEP_1) | instskip(SKIP_3) | instid1(VALU_DEP_1)
	v_max_f32_e32 v4, v4, v5
	ds_bpermute_b32 v5, v17, v4
	s_waitcnt lgkmcnt(0)
	v_max_f32_e32 v5, v5, v5
	v_max_f32_e32 v4, v4, v5
	ds_bpermute_b32 v5, v18, v4
	s_waitcnt lgkmcnt(0)
	v_max_f32_e32 v5, v5, v5
	s_delay_alu instid0(VALU_DEP_1) | instskip(SKIP_3) | instid1(VALU_DEP_1)
	v_max_f32_e32 v4, v4, v5
	ds_bpermute_b32 v5, v19, v4
	s_waitcnt lgkmcnt(0)
	v_max_f32_e32 v5, v5, v5
	v_max_f32_e32 v4, v4, v5
	ds_bpermute_b32 v5, v20, v4
	s_waitcnt lgkmcnt(0)
	v_max_f32_e32 v5, v5, v5
	s_delay_alu instid0(VALU_DEP_1)
	v_max_f32_e32 v27, v4, v5
	s_cbranch_execz .LBB3_2
	s_branch .LBB3_50
.LBB3_48:                               ;   in Loop: Header=BB3_4 Depth=1
	s_cbranch_execz .LBB3_2
	s_branch .LBB3_50
.LBB3_49:                               ;   in Loop: Header=BB3_4 Depth=1
	s_mov_b32 s38, -1
	s_and_b32 vcc_lo, exec_lo, s33
	s_cbranch_vccz .LBB3_2
.LBB3_50:                               ;   in Loop: Header=BB3_4 Depth=1
	v_mov_b32_e32 v28, 0
	s_add_u32 s33, s18, s10
	s_addc_u32 s34, s19, s11
	s_and_saveexec_b32 s39, s8
	s_cbranch_execz .LBB3_70
; %bb.51:                               ;   in Loop: Header=BB3_4 Depth=1
	v_dual_mov_b32 v28, 0 :: v_dual_mov_b32 v29, v13
	s_mov_b32 s40, 0
	s_branch .LBB3_53
.LBB3_52:                               ;   in Loop: Header=BB3_53 Depth=2
	s_or_b32 exec_lo, exec_lo, s10
	v_add_nc_u32_e32 v4, v24, v29
	v_add_nc_u32_e32 v29, v29, v26
	s_delay_alu instid0(VALU_DEP_2) | instskip(NEXT) | instid1(VALU_DEP_1)
	v_ashrrev_i32_e32 v5, 31, v4
	v_cmp_le_i64_e32 vcc_lo, s[26:27], v[4:5]
	s_or_b32 s40, vcc_lo, s40
	s_delay_alu instid0(SALU_CYCLE_1)
	s_and_not1_b32 exec_lo, exec_lo, s40
	s_cbranch_execz .LBB3_69
.LBB3_53:                               ;   Parent Loop BB3_4 Depth=1
                                        ; =>  This Inner Loop Header: Depth=2
	s_waitcnt vmcnt(0)
	s_delay_alu instid0(VALU_DEP_1) | instskip(SKIP_1) | instid1(VALU_DEP_2)
	v_dual_mov_b32 v31, 0xff800000 :: v_dual_add_nc_u32 v4, v21, v29
	v_mov_b32_e32 v33, 0xff800000
	v_ashrrev_i32_e32 v5, 31, v4
	s_delay_alu instid0(VALU_DEP_1) | instskip(SKIP_1) | instid1(VALU_DEP_2)
	v_cmp_gt_i64_e64 s12, s[26:27], v[4:5]
	v_lshlrev_b64 v[10:11], 2, v[4:5]
	s_and_saveexec_b32 s10, s12
	s_cbranch_execz .LBB3_55
; %bb.54:                               ;   in Loop: Header=BB3_53 Depth=2
	s_delay_alu instid0(VALU_DEP_1) | instskip(NEXT) | instid1(VALU_DEP_2)
	v_add_co_u32 v4, vcc_lo, s35, v10
	v_add_co_ci_u32_e32 v5, vcc_lo, s36, v11, vcc_lo
	global_load_b32 v33, v[4:5], off
.LBB3_55:                               ;   in Loop: Header=BB3_53 Depth=2
	s_or_b32 exec_lo, exec_lo, s10
	v_add_nc_u32_e32 v4, v25, v29
	s_delay_alu instid0(VALU_DEP_1) | instskip(NEXT) | instid1(VALU_DEP_1)
	v_ashrrev_i32_e32 v5, 31, v4
	v_cmp_gt_i64_e64 s11, s[26:27], v[4:5]
	v_lshlrev_b64 v[8:9], 2, v[4:5]
	s_delay_alu instid0(VALU_DEP_2)
	s_and_saveexec_b32 s10, s11
	s_cbranch_execz .LBB3_57
; %bb.56:                               ;   in Loop: Header=BB3_53 Depth=2
	s_delay_alu instid0(VALU_DEP_1) | instskip(NEXT) | instid1(VALU_DEP_2)
	v_add_co_u32 v4, vcc_lo, s35, v8
	v_add_co_ci_u32_e32 v5, vcc_lo, s36, v9, vcc_lo
	global_load_b32 v31, v[4:5], off
.LBB3_57:                               ;   in Loop: Header=BB3_53 Depth=2
	s_or_b32 exec_lo, exec_lo, s10
	v_add_nc_u32_e32 v4, v23, v29
	v_mov_b32_e32 v30, 0xff800000
	v_mov_b32_e32 v32, 0xff800000
	s_delay_alu instid0(VALU_DEP_3) | instskip(NEXT) | instid1(VALU_DEP_1)
	v_ashrrev_i32_e32 v5, 31, v4
	v_cmp_gt_i64_e64 s10, s[26:27], v[4:5]
	v_lshlrev_b64 v[6:7], 2, v[4:5]
	s_delay_alu instid0(VALU_DEP_2)
	s_and_saveexec_b32 s13, s10
	s_cbranch_execz .LBB3_59
; %bb.58:                               ;   in Loop: Header=BB3_53 Depth=2
	s_delay_alu instid0(VALU_DEP_1) | instskip(NEXT) | instid1(VALU_DEP_2)
	v_add_co_u32 v4, vcc_lo, s35, v6
	v_add_co_ci_u32_e32 v5, vcc_lo, s36, v7, vcc_lo
	global_load_b32 v32, v[4:5], off
.LBB3_59:                               ;   in Loop: Header=BB3_53 Depth=2
	s_or_b32 exec_lo, exec_lo, s13
	v_add_nc_u32_e32 v4, v22, v29
	s_delay_alu instid0(VALU_DEP_1) | instskip(NEXT) | instid1(VALU_DEP_1)
	v_ashrrev_i32_e32 v5, 31, v4
	v_cmp_gt_i64_e32 vcc_lo, s[26:27], v[4:5]
	v_lshlrev_b64 v[4:5], 2, v[4:5]
	s_and_saveexec_b32 s41, vcc_lo
	s_cbranch_execnz .LBB3_64
; %bb.60:                               ;   in Loop: Header=BB3_53 Depth=2
	s_or_b32 exec_lo, exec_lo, s41
	s_and_saveexec_b32 s13, s12
	s_cbranch_execnz .LBB3_65
.LBB3_61:                               ;   in Loop: Header=BB3_53 Depth=2
	s_or_b32 exec_lo, exec_lo, s13
	s_and_saveexec_b32 s12, s11
	s_cbranch_execnz .LBB3_66
.LBB3_62:                               ;   in Loop: Header=BB3_53 Depth=2
	s_or_b32 exec_lo, exec_lo, s12
	s_and_saveexec_b32 s11, s10
	s_cbranch_execnz .LBB3_67
.LBB3_63:                               ;   in Loop: Header=BB3_53 Depth=2
	s_or_b32 exec_lo, exec_lo, s11
	s_and_saveexec_b32 s10, vcc_lo
	s_cbranch_execz .LBB3_52
	s_branch .LBB3_68
.LBB3_64:                               ;   in Loop: Header=BB3_53 Depth=2
	s_delay_alu instid0(VALU_DEP_1) | instskip(NEXT) | instid1(VALU_DEP_1)
	v_add_co_u32 v34, s13, s35, v4
	v_add_co_ci_u32_e64 v35, s13, s36, v5, s13
	global_load_b32 v30, v[34:35], off
	s_or_b32 exec_lo, exec_lo, s41
	s_and_saveexec_b32 s13, s12
	s_cbranch_execz .LBB3_61
.LBB3_65:                               ;   in Loop: Header=BB3_53 Depth=2
	s_waitcnt vmcnt(0)
	v_sub_f32_e32 v33, v33, v27
	s_delay_alu instid0(VALU_DEP_1) | instskip(NEXT) | instid1(VALU_DEP_1)
	v_mul_f32_e32 v34, 0x3fb8aa3b, v33
	v_fma_f32 v35, 0x3fb8aa3b, v33, -v34
	v_rndne_f32_e32 v36, v34
	s_delay_alu instid0(VALU_DEP_1) | instskip(SKIP_1) | instid1(VALU_DEP_2)
	v_dual_sub_f32 v34, v34, v36 :: v_dual_fmac_f32 v35, 0x32a5705f, v33
	v_cmp_ngt_f32_e64 s12, 0xc2ce8ed0, v33
	v_add_f32_e32 v34, v34, v35
	v_cvt_i32_f32_e32 v35, v36
	s_delay_alu instid0(VALU_DEP_2) | instskip(SKIP_2) | instid1(VALU_DEP_1)
	v_exp_f32_e32 v34, v34
	s_waitcnt_depctr 0xfff
	v_ldexp_f32 v34, v34, v35
	v_cndmask_b32_e64 v34, 0, v34, s12
	v_cmp_nlt_f32_e64 s12, 0x42b17218, v33
	s_delay_alu instid0(VALU_DEP_1) | instskip(SKIP_1) | instid1(VALU_DEP_1)
	v_cndmask_b32_e64 v33, 0x7f800000, v34, s12
	v_add_co_u32 v10, s12, s33, v10
	v_add_co_ci_u32_e64 v11, s12, s34, v11, s12
	s_delay_alu instid0(VALU_DEP_3)
	v_add_f32_e32 v28, v28, v33
	global_store_b32 v[10:11], v33, off
	s_or_b32 exec_lo, exec_lo, s13
	s_and_saveexec_b32 s12, s11
	s_cbranch_execz .LBB3_62
.LBB3_66:                               ;   in Loop: Header=BB3_53 Depth=2
	s_waitcnt vmcnt(0)
	v_sub_f32_e32 v10, v31, v27
	s_delay_alu instid0(VALU_DEP_1) | instskip(SKIP_1) | instid1(VALU_DEP_2)
	v_mul_f32_e32 v11, 0x3fb8aa3b, v10
	v_cmp_ngt_f32_e64 s11, 0xc2ce8ed0, v10
	v_fma_f32 v31, 0x3fb8aa3b, v10, -v11
	v_rndne_f32_e32 v33, v11
	s_delay_alu instid0(VALU_DEP_2) | instskip(NEXT) | instid1(VALU_DEP_2)
	v_fmac_f32_e32 v31, 0x32a5705f, v10
	v_sub_f32_e32 v11, v11, v33
	s_delay_alu instid0(VALU_DEP_1) | instskip(SKIP_1) | instid1(VALU_DEP_2)
	v_add_f32_e32 v11, v11, v31
	v_cvt_i32_f32_e32 v31, v33
	v_exp_f32_e32 v11, v11
	s_waitcnt_depctr 0xfff
	v_ldexp_f32 v11, v11, v31
	s_delay_alu instid0(VALU_DEP_1) | instskip(SKIP_1) | instid1(VALU_DEP_1)
	v_cndmask_b32_e64 v11, 0, v11, s11
	v_cmp_nlt_f32_e64 s11, 0x42b17218, v10
	v_cndmask_b32_e64 v10, 0x7f800000, v11, s11
	v_add_co_u32 v8, s11, s33, v8
	s_delay_alu instid0(VALU_DEP_1) | instskip(NEXT) | instid1(VALU_DEP_3)
	v_add_co_ci_u32_e64 v9, s11, s34, v9, s11
	v_add_f32_e32 v28, v10, v28
	global_store_b32 v[8:9], v10, off
	s_or_b32 exec_lo, exec_lo, s12
	s_and_saveexec_b32 s11, s10
	s_cbranch_execz .LBB3_63
.LBB3_67:                               ;   in Loop: Header=BB3_53 Depth=2
	s_waitcnt vmcnt(0)
	v_sub_f32_e32 v8, v32, v27
	s_delay_alu instid0(VALU_DEP_1) | instskip(NEXT) | instid1(VALU_DEP_1)
	v_mul_f32_e32 v9, 0x3fb8aa3b, v8
	v_fma_f32 v10, 0x3fb8aa3b, v8, -v9
	v_rndne_f32_e32 v11, v9
	s_delay_alu instid0(VALU_DEP_1) | instskip(NEXT) | instid1(VALU_DEP_1)
	v_dual_fmac_f32 v10, 0x32a5705f, v8 :: v_dual_sub_f32 v9, v9, v11
	v_add_f32_e32 v9, v9, v10
	v_cvt_i32_f32_e32 v10, v11
	v_cmp_ngt_f32_e64 s10, 0xc2ce8ed0, v8
	s_delay_alu instid0(VALU_DEP_3) | instskip(SKIP_2) | instid1(VALU_DEP_1)
	v_exp_f32_e32 v9, v9
	s_waitcnt_depctr 0xfff
	v_ldexp_f32 v9, v9, v10
	v_cndmask_b32_e64 v9, 0, v9, s10
	v_cmp_nlt_f32_e64 s10, 0x42b17218, v8
	s_delay_alu instid0(VALU_DEP_1) | instskip(SKIP_1) | instid1(VALU_DEP_1)
	v_cndmask_b32_e64 v8, 0x7f800000, v9, s10
	v_add_co_u32 v6, s10, s33, v6
	v_add_co_ci_u32_e64 v7, s10, s34, v7, s10
	s_delay_alu instid0(VALU_DEP_3)
	v_add_f32_e32 v28, v8, v28
	global_store_b32 v[6:7], v8, off
	s_or_b32 exec_lo, exec_lo, s11
	s_and_saveexec_b32 s10, vcc_lo
	s_cbranch_execz .LBB3_52
.LBB3_68:                               ;   in Loop: Header=BB3_53 Depth=2
	s_waitcnt vmcnt(0)
	v_sub_f32_e32 v6, v30, v27
	s_delay_alu instid0(VALU_DEP_1) | instskip(NEXT) | instid1(VALU_DEP_1)
	v_mul_f32_e32 v7, 0x3fb8aa3b, v6
	v_fma_f32 v8, 0x3fb8aa3b, v6, -v7
	v_rndne_f32_e32 v9, v7
	s_delay_alu instid0(VALU_DEP_1) | instskip(SKIP_1) | instid1(VALU_DEP_4)
	v_sub_f32_e32 v7, v7, v9
	v_cmp_ngt_f32_e32 vcc_lo, 0xc2ce8ed0, v6
	v_fmac_f32_e32 v8, 0x32a5705f, v6
	s_delay_alu instid0(VALU_DEP_1) | instskip(SKIP_1) | instid1(VALU_DEP_2)
	v_add_f32_e32 v7, v7, v8
	v_cvt_i32_f32_e32 v8, v9
	v_exp_f32_e32 v7, v7
	s_waitcnt_depctr 0xfff
	v_ldexp_f32 v7, v7, v8
	s_delay_alu instid0(VALU_DEP_1) | instskip(SKIP_1) | instid1(VALU_DEP_2)
	v_cndmask_b32_e32 v7, 0, v7, vcc_lo
	v_cmp_nlt_f32_e32 vcc_lo, 0x42b17218, v6
	v_cndmask_b32_e32 v6, 0x7f800000, v7, vcc_lo
	v_add_co_u32 v4, vcc_lo, s33, v4
	v_add_co_ci_u32_e32 v5, vcc_lo, s34, v5, vcc_lo
	s_delay_alu instid0(VALU_DEP_3)
	v_add_f32_e32 v28, v6, v28
	global_store_b32 v[4:5], v6, off
	s_branch .LBB3_52
.LBB3_69:                               ;   in Loop: Header=BB3_4 Depth=1
	s_or_b32 exec_lo, exec_lo, s40
.LBB3_70:                               ;   in Loop: Header=BB3_4 Depth=1
	s_delay_alu instid0(SALU_CYCLE_1)
	s_or_b32 exec_lo, exec_lo, s39
	ds_bpermute_b32 v4, v16, v28
	s_mov_b32 s12, -1
	s_and_not1_b32 vcc_lo, exec_lo, s9
	s_mov_b32 s13, 0
	s_waitcnt lgkmcnt(0)
	v_add_f32_e32 v4, v28, v4
	ds_bpermute_b32 v5, v17, v4
	s_waitcnt lgkmcnt(0)
	v_add_f32_e32 v4, v4, v5
	ds_bpermute_b32 v5, v18, v4
	;; [unrolled: 3-line block ×4, first 2 shown]
	s_waitcnt lgkmcnt(0)
	v_add_f32_e32 v4, v4, v5
	s_cbranch_vccnz .LBB3_78
; %bb.71:                               ;   in Loop: Header=BB3_4 Depth=1
	s_mov_b32 s38, 0
	s_and_b32 vcc_lo, exec_lo, s30
	s_mov_b32 s10, 0
	s_cbranch_vccz .LBB3_77
; %bb.72:                               ;   in Loop: Header=BB3_4 Depth=1
	s_and_saveexec_b32 s10, s3
	s_cbranch_execz .LBB3_74
; %bb.73:                               ;   in Loop: Header=BB3_4 Depth=1
	ds_store_b32 v14, v4
.LBB3_74:                               ;   in Loop: Header=BB3_4 Depth=1
	s_or_b32 exec_lo, exec_lo, s10
	v_mov_b32_e32 v4, 0
	s_waitcnt vmcnt(0) lgkmcnt(0)
	s_waitcnt_vscnt null, 0x0
	s_barrier
	buffer_gl0_inv
	s_and_saveexec_b32 s10, s7
	s_cbranch_execz .LBB3_76
; %bb.75:                               ;   in Loop: Header=BB3_4 Depth=1
	ds_load_b32 v4, v15
.LBB3_76:                               ;   in Loop: Header=BB3_4 Depth=1
	s_or_b32 exec_lo, exec_lo, s10
	s_waitcnt lgkmcnt(0)
	ds_bpermute_b32 v5, v16, v4
	s_mov_b32 s10, -1
	s_waitcnt lgkmcnt(0)
	v_add_f32_e32 v4, v4, v5
	ds_bpermute_b32 v5, v17, v4
	s_waitcnt lgkmcnt(0)
	v_add_f32_e32 v4, v4, v5
	ds_bpermute_b32 v5, v18, v4
	;; [unrolled: 3-line block ×4, first 2 shown]
	s_waitcnt lgkmcnt(0)
	v_add_f32_e32 v4, v4, v5
.LBB3_77:                               ;   in Loop: Header=BB3_4 Depth=1
	s_mov_b32 s39, -1
	s_mov_b32 s37, 0
	s_and_b32 vcc_lo, exec_lo, s10
	s_cbranch_vccz .LBB3_2
	s_branch .LBB3_79
.LBB3_78:                               ;   in Loop: Header=BB3_4 Depth=1
	s_mov_b32 s39, 0
	s_cbranch_execz .LBB3_2
.LBB3_79:                               ;   in Loop: Header=BB3_4 Depth=1
	s_and_saveexec_b32 s10, s2
	s_cbranch_execz .LBB3_81
; %bb.80:                               ;   in Loop: Header=BB3_4 Depth=1
	global_store_b32 v12, v4, s[22:23]
.LBB3_81:                               ;   in Loop: Header=BB3_4 Depth=1
	s_or_b32 exec_lo, exec_lo, s10
	s_waitcnt vmcnt(0)
	s_waitcnt_vscnt null, 0x0
	buffer_gl1_inv
	buffer_gl0_inv
	s_barrier
	s_and_saveexec_b32 s12, s4
	s_cbranch_execz .LBB3_91
; %bb.82:                               ;   in Loop: Header=BB3_4 Depth=1
	s_load_b64 s[10:11], s[24:25], 0x58
	s_mov_b32 s13, exec_lo
	s_mov_b32 s35, exec_lo
	v_mbcnt_lo_u32_b32 v5, s13, 0
                                        ; implicit-def: $vgpr6
	s_waitcnt lgkmcnt(0)
	global_load_b32 v4, v12, s[10:11] offset:40
	v_cmpx_eq_u32_e32 0, v5
	s_cbranch_execz .LBB3_84
; %bb.83:                               ;   in Loop: Header=BB3_4 Depth=1
	s_bcnt1_i32_b32 s13, s13
	s_delay_alu instid0(SALU_CYCLE_1)
	v_mov_b32_e32 v6, s13
	global_atomic_add_u32 v6, v12, v6, s[10:11] offset:32 glc
.LBB3_84:                               ;   in Loop: Header=BB3_4 Depth=1
	s_or_b32 exec_lo, exec_lo, s35
	s_waitcnt vmcnt(0)
	v_readfirstlane_b32 s13, v6
	v_add_nc_u32_e32 v7, -1, v4
	s_delay_alu instid0(VALU_DEP_2) | instskip(SKIP_1) | instid1(VALU_DEP_1)
	v_add_nc_u32_e32 v5, s13, v5
	s_mov_b32 s13, exec_lo
	v_and_b32_e32 v6, 0xffff, v5
	s_delay_alu instid0(VALU_DEP_1)
	v_cmpx_ne_u32_e64 v6, v7
	s_xor_b32 s13, exec_lo, s13
	s_cbranch_execz .LBB3_88
; %bb.85:                               ;   in Loop: Header=BB3_4 Depth=1
	s_mov_b32 s35, 0
.LBB3_86:                               ;   Parent Loop BB3_4 Depth=1
                                        ; =>  This Inner Loop Header: Depth=2
	s_sleep 1
	global_load_b32 v4, v12, s[10:11] offset:32 glc
	s_waitcnt vmcnt(0)
	v_xor_b32_e32 v4, v4, v5
	s_delay_alu instid0(VALU_DEP_1) | instskip(SKIP_1) | instid1(SALU_CYCLE_1)
	v_cmp_lt_u32_e32 vcc_lo, 0xffff, v4
	s_or_b32 s35, vcc_lo, s35
	s_and_not1_b32 exec_lo, exec_lo, s35
	s_cbranch_execnz .LBB3_86
; %bb.87:                               ;   in Loop: Header=BB3_4 Depth=1
	s_or_b32 exec_lo, exec_lo, s35
                                        ; implicit-def: $vgpr4
.LBB3_88:                               ;   in Loop: Header=BB3_4 Depth=1
	s_and_not1_saveexec_b32 s13, s13
	s_cbranch_execz .LBB3_91
; %bb.89:                               ;   in Loop: Header=BB3_4 Depth=1
	s_mov_b32 s13, exec_lo
	s_delay_alu instid0(SALU_CYCLE_1) | instskip(NEXT) | instid1(VALU_DEP_1)
	v_mbcnt_lo_u32_b32 v5, s13, 0
	v_cmp_eq_u32_e32 vcc_lo, 0, v5
	s_and_b32 s35, exec_lo, vcc_lo
	s_delay_alu instid0(SALU_CYCLE_1)
	s_mov_b32 exec_lo, s35
	s_cbranch_execz .LBB3_91
; %bb.90:                               ;   in Loop: Header=BB3_4 Depth=1
	v_sub_nc_u32_e32 v4, 0x10000, v4
	s_bcnt1_i32_b32 s13, s13
	s_delay_alu instid0(VALU_DEP_1) | instid1(SALU_CYCLE_1)
	v_mul_lo_u32 v4, v4, s13
	global_atomic_add_u32 v12, v4, s[10:11] offset:32
.LBB3_91:                               ;   in Loop: Header=BB3_4 Depth=1
	s_or_b32 exec_lo, exec_lo, s12
	v_mov_b32_e32 v4, 0
	s_waitcnt_vscnt null, 0x0
	s_barrier
	s_and_saveexec_b32 s10, s5
	s_cbranch_execz .LBB3_93
; %bb.92:                               ;   in Loop: Header=BB3_4 Depth=1
	global_load_b32 v4, v[2:3], off
.LBB3_93:                               ;   in Loop: Header=BB3_4 Depth=1
	s_or_b32 exec_lo, exec_lo, s10
	s_waitcnt vmcnt(0)
	ds_bpermute_b32 v5, v16, v4
	s_mov_b32 s12, -1
	s_and_not1_b32 vcc_lo, exec_lo, s9
	s_mov_b32 s13, 0
	s_waitcnt lgkmcnt(0)
	v_add_f32_e32 v4, v4, v5
	ds_bpermute_b32 v5, v17, v4
	s_waitcnt lgkmcnt(0)
	v_add_f32_e32 v4, v4, v5
	ds_bpermute_b32 v5, v18, v4
	;; [unrolled: 3-line block ×4, first 2 shown]
	s_waitcnt lgkmcnt(0)
	v_add_f32_e32 v27, v4, v5
	s_cbranch_vccnz .LBB3_101
; %bb.94:                               ;   in Loop: Header=BB3_4 Depth=1
	s_mov_b32 s39, 0
	s_and_b32 vcc_lo, exec_lo, s30
	s_mov_b32 s10, 0
	s_cbranch_vccz .LBB3_100
; %bb.95:                               ;   in Loop: Header=BB3_4 Depth=1
	s_and_saveexec_b32 s10, s3
	s_cbranch_execz .LBB3_97
; %bb.96:                               ;   in Loop: Header=BB3_4 Depth=1
	ds_store_b32 v14, v27
.LBB3_97:                               ;   in Loop: Header=BB3_4 Depth=1
	s_or_b32 exec_lo, exec_lo, s10
	v_mov_b32_e32 v4, 0
	s_waitcnt lgkmcnt(0)
	s_barrier
	buffer_gl0_inv
	s_and_saveexec_b32 s10, s7
	s_cbranch_execz .LBB3_99
; %bb.98:                               ;   in Loop: Header=BB3_4 Depth=1
	ds_load_b32 v4, v15
.LBB3_99:                               ;   in Loop: Header=BB3_4 Depth=1
	s_or_b32 exec_lo, exec_lo, s10
	s_waitcnt lgkmcnt(0)
	ds_bpermute_b32 v5, v16, v4
	s_mov_b32 s10, -1
	s_waitcnt lgkmcnt(0)
	v_add_f32_e32 v4, v4, v5
	ds_bpermute_b32 v5, v17, v4
	s_waitcnt lgkmcnt(0)
	v_add_f32_e32 v4, v4, v5
	ds_bpermute_b32 v5, v18, v4
	;; [unrolled: 3-line block ×4, first 2 shown]
	s_waitcnt lgkmcnt(0)
	v_add_f32_e32 v27, v4, v5
.LBB3_100:                              ;   in Loop: Header=BB3_4 Depth=1
	s_mov_b32 s13, -1
	s_mov_b32 s38, 0
	s_mov_b32 s37, 0
	s_and_b32 vcc_lo, exec_lo, s10
	s_cbranch_vccz .LBB3_3
	s_branch .LBB3_102
.LBB3_101:                              ;   in Loop: Header=BB3_4 Depth=1
	s_cbranch_execz .LBB3_3
.LBB3_102:                              ;   in Loop: Header=BB3_4 Depth=1
	s_and_saveexec_b32 s35, s8
	s_cbranch_execz .LBB3_121
; %bb.103:                              ;   in Loop: Header=BB3_4 Depth=1
	v_mov_b32_e32 v28, v13
	s_mov_b32 s36, 0
	s_branch .LBB3_105
.LBB3_104:                              ;   in Loop: Header=BB3_105 Depth=2
	s_or_b32 exec_lo, exec_lo, s11
	v_add_nc_u32_e32 v4, v24, v28
	v_add_nc_u32_e32 v28, v28, v26
	s_delay_alu instid0(VALU_DEP_2) | instskip(NEXT) | instid1(VALU_DEP_1)
	v_ashrrev_i32_e32 v5, 31, v4
	v_cmp_le_i64_e32 vcc_lo, s[26:27], v[4:5]
	s_or_b32 s36, vcc_lo, s36
	s_delay_alu instid0(SALU_CYCLE_1)
	s_and_not1_b32 exec_lo, exec_lo, s36
	s_cbranch_execz .LBB3_121
.LBB3_105:                              ;   Parent Loop BB3_4 Depth=1
                                        ; =>  This Inner Loop Header: Depth=2
	s_delay_alu instid0(VALU_DEP_1) | instskip(SKIP_3) | instid1(VALU_DEP_3)
	v_add_nc_u32_e32 v4, v21, v28
	s_waitcnt vmcnt(0)
	v_mov_b32_e32 v30, 0xff800000
	v_mov_b32_e32 v32, 0xff800000
	v_ashrrev_i32_e32 v5, 31, v4
	s_delay_alu instid0(VALU_DEP_1)
	v_cmp_gt_i64_e32 vcc_lo, s[26:27], v[4:5]
	v_lshlrev_b64 v[10:11], 2, v[4:5]
	s_and_saveexec_b32 s11, vcc_lo
	s_cbranch_execz .LBB3_107
; %bb.106:                              ;   in Loop: Header=BB3_105 Depth=2
	s_delay_alu instid0(VALU_DEP_1) | instskip(NEXT) | instid1(VALU_DEP_1)
	v_add_co_u32 v4, s10, s33, v10
	v_add_co_ci_u32_e64 v5, s10, s34, v11, s10
	global_load_b32 v32, v[4:5], off
.LBB3_107:                              ;   in Loop: Header=BB3_105 Depth=2
	s_or_b32 exec_lo, exec_lo, s11
	v_add_nc_u32_e32 v4, v25, v28
	s_delay_alu instid0(VALU_DEP_1) | instskip(NEXT) | instid1(VALU_DEP_1)
	v_ashrrev_i32_e32 v5, 31, v4
	v_cmp_gt_i64_e64 s12, s[26:27], v[4:5]
	v_lshlrev_b64 v[8:9], 2, v[4:5]
	s_delay_alu instid0(VALU_DEP_2)
	s_and_saveexec_b32 s11, s12
	s_cbranch_execz .LBB3_109
; %bb.108:                              ;   in Loop: Header=BB3_105 Depth=2
	s_delay_alu instid0(VALU_DEP_1) | instskip(NEXT) | instid1(VALU_DEP_1)
	v_add_co_u32 v4, s10, s33, v8
	v_add_co_ci_u32_e64 v5, s10, s34, v9, s10
	global_load_b32 v30, v[4:5], off
.LBB3_109:                              ;   in Loop: Header=BB3_105 Depth=2
	s_or_b32 exec_lo, exec_lo, s11
	v_dual_mov_b32 v29, 0xff800000 :: v_dual_add_nc_u32 v4, v23, v28
	v_mov_b32_e32 v31, 0xff800000
	s_delay_alu instid0(VALU_DEP_2) | instskip(NEXT) | instid1(VALU_DEP_1)
	v_ashrrev_i32_e32 v5, 31, v4
	v_cmp_gt_i64_e64 s11, s[26:27], v[4:5]
	v_lshlrev_b64 v[6:7], 2, v[4:5]
	s_delay_alu instid0(VALU_DEP_2)
	s_and_saveexec_b32 s13, s11
	s_cbranch_execz .LBB3_111
; %bb.110:                              ;   in Loop: Header=BB3_105 Depth=2
	s_delay_alu instid0(VALU_DEP_1) | instskip(NEXT) | instid1(VALU_DEP_1)
	v_add_co_u32 v4, s10, s33, v6
	v_add_co_ci_u32_e64 v5, s10, s34, v7, s10
	global_load_b32 v31, v[4:5], off
.LBB3_111:                              ;   in Loop: Header=BB3_105 Depth=2
	s_or_b32 exec_lo, exec_lo, s13
	v_add_nc_u32_e32 v4, v22, v28
	s_delay_alu instid0(VALU_DEP_1) | instskip(NEXT) | instid1(VALU_DEP_1)
	v_ashrrev_i32_e32 v5, 31, v4
	v_cmp_gt_i64_e64 s10, s[26:27], v[4:5]
	v_lshlrev_b64 v[4:5], 2, v[4:5]
	s_delay_alu instid0(VALU_DEP_2)
	s_and_saveexec_b32 s37, s10
	s_cbranch_execnz .LBB3_116
; %bb.112:                              ;   in Loop: Header=BB3_105 Depth=2
	s_or_b32 exec_lo, exec_lo, s37
	s_and_saveexec_b32 s13, vcc_lo
	s_cbranch_execnz .LBB3_117
.LBB3_113:                              ;   in Loop: Header=BB3_105 Depth=2
	s_or_b32 exec_lo, exec_lo, s13
	s_and_saveexec_b32 s13, s12
	s_cbranch_execnz .LBB3_118
.LBB3_114:                              ;   in Loop: Header=BB3_105 Depth=2
	s_or_b32 exec_lo, exec_lo, s13
	s_and_saveexec_b32 s12, s11
	s_cbranch_execnz .LBB3_119
.LBB3_115:                              ;   in Loop: Header=BB3_105 Depth=2
	s_or_b32 exec_lo, exec_lo, s12
	s_and_saveexec_b32 s11, s10
	s_cbranch_execz .LBB3_104
	s_branch .LBB3_120
.LBB3_116:                              ;   in Loop: Header=BB3_105 Depth=2
	s_delay_alu instid0(VALU_DEP_1) | instskip(NEXT) | instid1(VALU_DEP_1)
	v_add_co_u32 v33, s13, s33, v4
	v_add_co_ci_u32_e64 v34, s13, s34, v5, s13
	global_load_b32 v29, v[33:34], off
	s_or_b32 exec_lo, exec_lo, s37
	s_and_saveexec_b32 s13, vcc_lo
	s_cbranch_execz .LBB3_113
.LBB3_117:                              ;   in Loop: Header=BB3_105 Depth=2
	s_waitcnt vmcnt(0)
	v_div_scale_f32 v33, null, v27, v27, v32
	s_delay_alu instid0(VALU_DEP_1) | instskip(SKIP_2) | instid1(VALU_DEP_1)
	v_rcp_f32_e32 v34, v33
	s_waitcnt_depctr 0xfff
	v_fma_f32 v35, -v33, v34, 1.0
	v_fmac_f32_e32 v34, v35, v34
	v_div_scale_f32 v35, vcc_lo, v32, v27, v32
	s_delay_alu instid0(VALU_DEP_1) | instskip(NEXT) | instid1(VALU_DEP_1)
	v_mul_f32_e32 v36, v35, v34
	v_fma_f32 v37, -v33, v36, v35
	s_delay_alu instid0(VALU_DEP_1) | instskip(NEXT) | instid1(VALU_DEP_1)
	v_fmac_f32_e32 v36, v37, v34
	v_fma_f32 v33, -v33, v36, v35
	s_delay_alu instid0(VALU_DEP_1) | instskip(SKIP_2) | instid1(VALU_DEP_3)
	v_div_fmas_f32 v33, v33, v34, v36
	v_add_co_u32 v10, vcc_lo, s33, v10
	v_add_co_ci_u32_e32 v11, vcc_lo, s34, v11, vcc_lo
	v_div_fixup_f32 v32, v33, v27, v32
	global_store_b32 v[10:11], v32, off
	s_or_b32 exec_lo, exec_lo, s13
	s_and_saveexec_b32 s13, s12
	s_cbranch_execz .LBB3_114
.LBB3_118:                              ;   in Loop: Header=BB3_105 Depth=2
	s_waitcnt vmcnt(0)
	v_div_scale_f32 v10, null, v27, v27, v30
	s_delay_alu instid0(VALU_DEP_1) | instskip(SKIP_2) | instid1(VALU_DEP_1)
	v_rcp_f32_e32 v11, v10
	s_waitcnt_depctr 0xfff
	v_fma_f32 v32, -v10, v11, 1.0
	v_fmac_f32_e32 v11, v32, v11
	v_div_scale_f32 v32, vcc_lo, v30, v27, v30
	s_delay_alu instid0(VALU_DEP_1) | instskip(NEXT) | instid1(VALU_DEP_1)
	v_mul_f32_e32 v33, v32, v11
	v_fma_f32 v34, -v10, v33, v32
	s_delay_alu instid0(VALU_DEP_1) | instskip(NEXT) | instid1(VALU_DEP_1)
	v_fmac_f32_e32 v33, v34, v11
	v_fma_f32 v10, -v10, v33, v32
	s_delay_alu instid0(VALU_DEP_1) | instskip(SKIP_2) | instid1(VALU_DEP_3)
	v_div_fmas_f32 v10, v10, v11, v33
	v_add_co_u32 v8, vcc_lo, s33, v8
	v_add_co_ci_u32_e32 v9, vcc_lo, s34, v9, vcc_lo
	v_div_fixup_f32 v10, v10, v27, v30
	global_store_b32 v[8:9], v10, off
	s_or_b32 exec_lo, exec_lo, s13
	s_and_saveexec_b32 s12, s11
	s_cbranch_execz .LBB3_115
.LBB3_119:                              ;   in Loop: Header=BB3_105 Depth=2
	s_waitcnt vmcnt(0)
	v_div_scale_f32 v8, null, v27, v27, v31
	s_delay_alu instid0(VALU_DEP_1) | instskip(SKIP_2) | instid1(VALU_DEP_1)
	v_rcp_f32_e32 v9, v8
	s_waitcnt_depctr 0xfff
	v_fma_f32 v10, -v8, v9, 1.0
	v_fmac_f32_e32 v9, v10, v9
	v_div_scale_f32 v10, vcc_lo, v31, v27, v31
	s_delay_alu instid0(VALU_DEP_1) | instskip(NEXT) | instid1(VALU_DEP_1)
	v_mul_f32_e32 v11, v10, v9
	v_fma_f32 v30, -v8, v11, v10
	s_delay_alu instid0(VALU_DEP_1) | instskip(NEXT) | instid1(VALU_DEP_1)
	v_fmac_f32_e32 v11, v30, v9
	v_fma_f32 v8, -v8, v11, v10
	s_delay_alu instid0(VALU_DEP_1) | instskip(SKIP_2) | instid1(VALU_DEP_3)
	v_div_fmas_f32 v8, v8, v9, v11
	v_add_co_u32 v6, vcc_lo, s33, v6
	v_add_co_ci_u32_e32 v7, vcc_lo, s34, v7, vcc_lo
	v_div_fixup_f32 v8, v8, v27, v31
	global_store_b32 v[6:7], v8, off
	s_or_b32 exec_lo, exec_lo, s12
	s_and_saveexec_b32 s11, s10
	s_cbranch_execz .LBB3_104
.LBB3_120:                              ;   in Loop: Header=BB3_105 Depth=2
	s_waitcnt vmcnt(0)
	v_div_scale_f32 v6, null, v27, v27, v29
	s_delay_alu instid0(VALU_DEP_1) | instskip(SKIP_2) | instid1(VALU_DEP_1)
	v_rcp_f32_e32 v7, v6
	s_waitcnt_depctr 0xfff
	v_fma_f32 v8, -v6, v7, 1.0
	v_fmac_f32_e32 v7, v8, v7
	v_div_scale_f32 v8, vcc_lo, v29, v27, v29
	s_delay_alu instid0(VALU_DEP_1) | instskip(NEXT) | instid1(VALU_DEP_1)
	v_mul_f32_e32 v9, v8, v7
	v_fma_f32 v10, -v6, v9, v8
	s_delay_alu instid0(VALU_DEP_1) | instskip(NEXT) | instid1(VALU_DEP_1)
	v_fmac_f32_e32 v9, v10, v7
	v_fma_f32 v6, -v6, v9, v8
	s_delay_alu instid0(VALU_DEP_1) | instskip(SKIP_2) | instid1(VALU_DEP_3)
	v_div_fmas_f32 v6, v6, v7, v9
	v_add_co_u32 v4, vcc_lo, s33, v4
	v_add_co_ci_u32_e32 v5, vcc_lo, s34, v5, vcc_lo
	v_div_fixup_f32 v6, v6, v27, v29
	global_store_b32 v[4:5], v6, off
	s_branch .LBB3_104
.LBB3_121:                              ;   in Loop: Header=BB3_4 Depth=1
	s_or_b32 exec_lo, exec_lo, s35
	s_add_u32 s28, s28, 1
	s_addc_u32 s29, s29, 0
	s_mov_b32 s13, 0
	v_cmp_le_i64_e64 s12, s[14:15], s[28:29]
	s_mov_b32 s39, 0
	s_mov_b32 s38, 0
	;; [unrolled: 1-line block ×3, first 2 shown]
	s_branch .LBB3_3
.LBB3_122:
	s_mov_b32 s3, -1
	s_and_b32 vcc_lo, exec_lo, s31
	s_mov_b32 s2, 0
	s_cbranch_vccz .LBB3_127
; %bb.123:
	s_and_b32 vcc_lo, exec_lo, s3
	s_cbranch_vccnz .LBB3_142
.LBB3_124:
	s_and_not1_b32 vcc_lo, exec_lo, s2
	s_cbranch_vccnz .LBB3_126
.LBB3_125:
	; divergent unreachable
.LBB3_126:
	s_endpgm
.LBB3_127:
	s_xor_b32 s2, s37, -1
	s_delay_alu instid0(SALU_CYCLE_1)
	s_and_b32 vcc_lo, exec_lo, s2
	s_cbranch_vccz .LBB3_132
; %bb.128:
	s_xor_b32 s2, s38, -1
	s_delay_alu instid0(SALU_CYCLE_1)
	s_and_b32 vcc_lo, exec_lo, s2
	s_cbranch_vccz .LBB3_133
; %bb.129:
	;; [unrolled: 5-line block ×3, first 2 shown]
	s_mov_b32 s17, 0
	s_and_b32 vcc_lo, exec_lo, s13
	s_mov_b32 s2, 0
	s_cbranch_vccz .LBB3_135
; %bb.131:
	s_add_u32 s8, s0, 0xa0
	s_addc_u32 s9, s1, 0
	s_getpc_b64 s[2:3]
	s_add_u32 s2, s2, .str.2@rel32@lo+4
	s_addc_u32 s3, s3, .str.2@rel32@hi+12
	s_getpc_b64 s[4:5]
	s_add_u32 s4, s4, .str.3@rel32@lo+4
	s_addc_u32 s5, s5, .str.3@rel32@hi+12
	s_getpc_b64 s[6:7]
	s_add_u32 s6, s6, __PRETTY_FUNCTION__._ZL12block_reduceIL19block_reduce_method1ELj0EfET1_S1_PS1_@rel32@lo+4
	s_addc_u32 s7, s7, __PRETTY_FUNCTION__._ZL12block_reduceIL19block_reduce_method1ELj0EfET1_S1_PS1_@rel32@hi+12
	v_dual_mov_b32 v0, s2 :: v_dual_mov_b32 v1, s3
	v_dual_mov_b32 v2, s4 :: v_dual_mov_b32 v3, s5
	;; [unrolled: 1-line block ×3, first 2 shown]
	v_mov_b32_e32 v6, s7
	s_getpc_b64 s[10:11]
	s_add_u32 s10, s10, __assert_fail@rel32@lo+4
	s_addc_u32 s11, s11, __assert_fail@rel32@hi+12
	s_mov_b64 s[18:19], s[0:1]
	s_swappc_b64 s[30:31], s[10:11]
	s_mov_b64 s[0:1], s[18:19]
	s_mov_b32 s2, -1
	s_branch .LBB3_135
.LBB3_132:
	s_mov_b32 s2, 0
	s_and_b32 vcc_lo, exec_lo, s3
	s_cbranch_vccnz .LBB3_140
	s_branch .LBB3_141
.LBB3_133:
	s_mov_b32 s2, 0
	s_and_b32 vcc_lo, exec_lo, s3
	s_cbranch_vccnz .LBB3_138
	s_branch .LBB3_139
.LBB3_134:
	s_mov_b32 s17, -1
	s_mov_b32 s2, 0
.LBB3_135:
	s_and_b32 vcc_lo, exec_lo, s17
	s_cbranch_vccz .LBB3_137
; %bb.136:
	s_add_u32 s8, s0, 0xa0
	s_addc_u32 s9, s1, 0
	s_getpc_b64 s[2:3]
	s_add_u32 s2, s2, .str.2@rel32@lo+4
	s_addc_u32 s3, s3, .str.2@rel32@hi+12
	s_getpc_b64 s[4:5]
	s_add_u32 s4, s4, .str.3@rel32@lo+4
	s_addc_u32 s5, s5, .str.3@rel32@hi+12
	s_getpc_b64 s[6:7]
	s_add_u32 s6, s6, __PRETTY_FUNCTION__._ZL12block_reduceIL19block_reduce_method1ELj0EfET1_S1_PS1_@rel32@lo+4
	s_addc_u32 s7, s7, __PRETTY_FUNCTION__._ZL12block_reduceIL19block_reduce_method1ELj0EfET1_S1_PS1_@rel32@hi+12
	v_dual_mov_b32 v0, s2 :: v_dual_mov_b32 v1, s3
	v_dual_mov_b32 v2, s4 :: v_dual_mov_b32 v3, s5
	;; [unrolled: 1-line block ×3, first 2 shown]
	v_mov_b32_e32 v6, s7
	s_getpc_b64 s[10:11]
	s_add_u32 s10, s10, __assert_fail@rel32@lo+4
	s_addc_u32 s11, s11, __assert_fail@rel32@hi+12
	s_mov_b64 s[18:19], s[0:1]
	s_swappc_b64 s[30:31], s[10:11]
	s_mov_b64 s[0:1], s[18:19]
	s_mov_b32 s2, -1
.LBB3_137:
	s_branch .LBB3_139
.LBB3_138:
	s_add_u32 s8, s0, 0xa0
	s_addc_u32 s9, s1, 0
	s_getpc_b64 s[2:3]
	s_add_u32 s2, s2, .str.2@rel32@lo+4
	s_addc_u32 s3, s3, .str.2@rel32@hi+12
	s_getpc_b64 s[4:5]
	s_add_u32 s4, s4, .str.3@rel32@lo+4
	s_addc_u32 s5, s5, .str.3@rel32@hi+12
	s_getpc_b64 s[6:7]
	s_add_u32 s6, s6, __PRETTY_FUNCTION__._ZL12block_reduceIL19block_reduce_method0ELj0EfET1_S1_PS1_@rel32@lo+4
	s_addc_u32 s7, s7, __PRETTY_FUNCTION__._ZL12block_reduceIL19block_reduce_method0ELj0EfET1_S1_PS1_@rel32@hi+12
	v_dual_mov_b32 v0, s2 :: v_dual_mov_b32 v1, s3
	v_dual_mov_b32 v2, s4 :: v_dual_mov_b32 v3, s5
	;; [unrolled: 1-line block ×3, first 2 shown]
	v_mov_b32_e32 v6, s7
	s_getpc_b64 s[10:11]
	s_add_u32 s10, s10, __assert_fail@rel32@lo+4
	s_addc_u32 s11, s11, __assert_fail@rel32@hi+12
	s_mov_b64 s[18:19], s[0:1]
	s_swappc_b64 s[30:31], s[10:11]
	s_mov_b64 s[0:1], s[18:19]
	s_mov_b32 s2, -1
.LBB3_139:
	s_branch .LBB3_141
.LBB3_140:
	s_add_u32 s8, s0, 0xa0
	s_addc_u32 s9, s1, 0
	s_getpc_b64 s[2:3]
	s_add_u32 s2, s2, .str@rel32@lo+4
	s_addc_u32 s3, s3, .str@rel32@hi+12
	s_getpc_b64 s[4:5]
	s_add_u32 s4, s4, .str.1@rel32@lo+4
	s_addc_u32 s5, s5, .str.1@rel32@hi+12
	s_getpc_b64 s[6:7]
	s_add_u32 s6, s6, __PRETTY_FUNCTION__._ZL40soft_max_f32_parallelize_cols_single_rowPKfPfS1_S1_15soft_max_params@rel32@lo+4
	s_addc_u32 s7, s7, __PRETTY_FUNCTION__._ZL40soft_max_f32_parallelize_cols_single_rowPKfPfS1_S1_15soft_max_params@rel32@hi+12
	v_dual_mov_b32 v0, s2 :: v_dual_mov_b32 v1, s3
	v_dual_mov_b32 v2, s4 :: v_dual_mov_b32 v3, s5
	v_dual_mov_b32 v4, 0xb7 :: v_dual_mov_b32 v5, s6
	v_mov_b32_e32 v6, s7
	s_getpc_b64 s[10:11]
	s_add_u32 s10, s10, __assert_fail@rel32@lo+4
	s_addc_u32 s11, s11, __assert_fail@rel32@hi+12
	s_mov_b64 s[18:19], s[0:1]
	s_swappc_b64 s[30:31], s[10:11]
	s_mov_b64 s[0:1], s[18:19]
	s_mov_b32 s2, -1
.LBB3_141:
	s_branch .LBB3_124
.LBB3_142:
	s_add_u32 s8, s0, 0xa0
	s_addc_u32 s9, s1, 0
	s_getpc_b64 s[0:1]
	s_add_u32 s0, s0, .str.2@rel32@lo+4
	s_addc_u32 s1, s1, .str.2@rel32@hi+12
	s_getpc_b64 s[2:3]
	s_add_u32 s2, s2, .str.3@rel32@lo+4
	s_addc_u32 s3, s3, .str.3@rel32@hi+12
	s_getpc_b64 s[4:5]
	s_add_u32 s4, s4, __PRETTY_FUNCTION__._ZL12block_reduceIL19block_reduce_method0ELj0EfET1_S1_PS1_@rel32@lo+4
	s_addc_u32 s5, s5, __PRETTY_FUNCTION__._ZL12block_reduceIL19block_reduce_method0ELj0EfET1_S1_PS1_@rel32@hi+12
	v_dual_mov_b32 v0, s0 :: v_dual_mov_b32 v1, s1
	v_dual_mov_b32 v2, s2 :: v_dual_mov_b32 v3, s3
	;; [unrolled: 1-line block ×3, first 2 shown]
	v_mov_b32_e32 v6, s5
	s_getpc_b64 s[6:7]
	s_add_u32 s6, s6, __assert_fail@rel32@lo+4
	s_addc_u32 s7, s7, __assert_fail@rel32@hi+12
	s_delay_alu instid0(SALU_CYCLE_1)
	s_swappc_b64 s[30:31], s[6:7]
	s_branch .LBB3_125
	.section	.rodata,"a",@progbits
	.p2align	6, 0x0
	.amdhsa_kernel _ZL29soft_max_f32_parallelize_colsPKfPfS1_S1_15soft_max_params
		.amdhsa_group_segment_fixed_size 128
		.amdhsa_private_segment_fixed_size 64
		.amdhsa_kernarg_size 416
		.amdhsa_user_sgpr_count 15
		.amdhsa_user_sgpr_dispatch_ptr 0
		.amdhsa_user_sgpr_queue_ptr 0
		.amdhsa_user_sgpr_kernarg_segment_ptr 1
		.amdhsa_user_sgpr_dispatch_id 0
		.amdhsa_user_sgpr_private_segment_size 0
		.amdhsa_wavefront_size32 1
		.amdhsa_uses_dynamic_stack 0
		.amdhsa_enable_private_segment 1
		.amdhsa_system_sgpr_workgroup_id_x 1
		.amdhsa_system_sgpr_workgroup_id_y 0
		.amdhsa_system_sgpr_workgroup_id_z 0
		.amdhsa_system_sgpr_workgroup_info 0
		.amdhsa_system_vgpr_workitem_id 2
		.amdhsa_next_free_vgpr 53
		.amdhsa_next_free_sgpr 42
		.amdhsa_reserve_vcc 1
		.amdhsa_float_round_mode_32 0
		.amdhsa_float_round_mode_16_64 0
		.amdhsa_float_denorm_mode_32 3
		.amdhsa_float_denorm_mode_16_64 3
		.amdhsa_dx10_clamp 1
		.amdhsa_ieee_mode 1
		.amdhsa_fp16_overflow 0
		.amdhsa_workgroup_processor_mode 1
		.amdhsa_memory_ordered 1
		.amdhsa_forward_progress 0
		.amdhsa_shared_vgpr_count 0
		.amdhsa_exception_fp_ieee_invalid_op 0
		.amdhsa_exception_fp_denorm_src 0
		.amdhsa_exception_fp_ieee_div_zero 0
		.amdhsa_exception_fp_ieee_overflow 0
		.amdhsa_exception_fp_ieee_underflow 0
		.amdhsa_exception_fp_ieee_inexact 0
		.amdhsa_exception_int_div_zero 0
	.end_amdhsa_kernel
	.section	.text._ZL29soft_max_f32_parallelize_colsPKfPfS1_S1_15soft_max_params,"axG",@progbits,_ZL29soft_max_f32_parallelize_colsPKfPfS1_S1_15soft_max_params,comdat
.Lfunc_end3:
	.size	_ZL29soft_max_f32_parallelize_colsPKfPfS1_S1_15soft_max_params, .Lfunc_end3-_ZL29soft_max_f32_parallelize_colsPKfPfS1_S1_15soft_max_params
                                        ; -- End function
	.section	.AMDGPU.csdata,"",@progbits
; Kernel info:
; codeLenInByte = 6024
; NumSgprs: 44
; NumVgprs: 53
; ScratchSize: 64
; MemoryBound: 0
; FloatMode: 240
; IeeeMode: 1
; LDSByteSize: 128 bytes/workgroup (compile time only)
; SGPRBlocks: 5
; VGPRBlocks: 6
; NumSGPRsForWavesPerEU: 44
; NumVGPRsForWavesPerEU: 53
; Occupancy: 16
; WaveLimiterHint : 1
; COMPUTE_PGM_RSRC2:SCRATCH_EN: 1
; COMPUTE_PGM_RSRC2:USER_SGPR: 15
; COMPUTE_PGM_RSRC2:TRAP_HANDLER: 0
; COMPUTE_PGM_RSRC2:TGID_X_EN: 1
; COMPUTE_PGM_RSRC2:TGID_Y_EN: 0
; COMPUTE_PGM_RSRC2:TGID_Z_EN: 0
; COMPUTE_PGM_RSRC2:TIDIG_COMP_CNT: 2
	.section	.text._ZL12soft_max_f32ILb1ELi4096ELi1024E6__halfEvPKfPKT2_S2_Pf15soft_max_params,"axG",@progbits,_ZL12soft_max_f32ILb1ELi4096ELi1024E6__halfEvPKfPKT2_S2_Pf15soft_max_params,comdat
	.globl	_ZL12soft_max_f32ILb1ELi4096ELi1024E6__halfEvPKfPKT2_S2_Pf15soft_max_params ; -- Begin function _ZL12soft_max_f32ILb1ELi4096ELi1024E6__halfEvPKfPKT2_S2_Pf15soft_max_params
	.p2align	8
	.type	_ZL12soft_max_f32ILb1ELi4096ELi1024E6__halfEvPKfPKT2_S2_Pf15soft_max_params,@function
_ZL12soft_max_f32ILb1ELi4096ELi1024E6__halfEvPKfPKT2_S2_Pf15soft_max_params: ; @_ZL12soft_max_f32ILb1ELi4096ELi1024E6__halfEvPKfPKT2_S2_Pf15soft_max_params
; %bb.0:
	s_clause 0x1
	s_load_b256 s[16:23], s[0:1], 0x68
	s_load_b64 s[4:5], s[0:1], 0x88
	s_mov_b32 s2, s15
	s_mov_b32 s15, 0
	s_delay_alu instid0(SALU_CYCLE_1) | instskip(SKIP_2) | instid1(SALU_CYCLE_1)
	s_mov_b32 s6, s15
	s_waitcnt lgkmcnt(0)
	s_mov_b32 s7, s23
	s_cmp_lg_u64 s[6:7], 0
	s_cbranch_scc0 .LBB4_10
; %bb.1:
	s_ashr_i32 s6, s23, 31
	s_delay_alu instid0(SALU_CYCLE_1) | instskip(SKIP_2) | instid1(SALU_CYCLE_1)
	s_add_u32 s8, s22, s6
	s_mov_b32 s7, s6
	s_addc_u32 s9, s23, s6
	s_xor_b64 s[6:7], s[8:9], s[6:7]
	s_delay_alu instid0(SALU_CYCLE_1) | instskip(SKIP_3) | instid1(VALU_DEP_1)
	v_cvt_f32_u32_e32 v1, s6
	v_cvt_f32_u32_e32 v2, s7
	s_sub_u32 s9, 0, s6
	s_subb_u32 s10, 0, s7
	v_fmamk_f32 v1, v2, 0x4f800000, v1
	s_delay_alu instid0(VALU_DEP_1) | instskip(SKIP_2) | instid1(VALU_DEP_1)
	v_rcp_f32_e32 v1, v1
	s_waitcnt_depctr 0xfff
	v_mul_f32_e32 v1, 0x5f7ffffc, v1
	v_mul_f32_e32 v2, 0x2f800000, v1
	s_delay_alu instid0(VALU_DEP_1) | instskip(NEXT) | instid1(VALU_DEP_1)
	v_trunc_f32_e32 v2, v2
	v_fmamk_f32 v1, v2, 0xcf800000, v1
	v_cvt_u32_f32_e32 v2, v2
	s_delay_alu instid0(VALU_DEP_2) | instskip(NEXT) | instid1(VALU_DEP_2)
	v_cvt_u32_f32_e32 v1, v1
	v_readfirstlane_b32 s3, v2
	s_delay_alu instid0(VALU_DEP_2) | instskip(NEXT) | instid1(VALU_DEP_2)
	v_readfirstlane_b32 s8, v1
	s_mul_i32 s11, s9, s3
	s_delay_alu instid0(VALU_DEP_1)
	s_mul_hi_u32 s23, s9, s8
	s_mul_i32 s12, s10, s8
	s_add_i32 s11, s23, s11
	s_mul_i32 s24, s9, s8
	s_add_i32 s11, s11, s12
	s_mul_hi_u32 s23, s8, s24
	s_mul_hi_u32 s25, s3, s24
	s_mul_i32 s12, s3, s24
	s_mul_hi_u32 s24, s8, s11
	s_mul_i32 s8, s8, s11
	s_mul_hi_u32 s26, s3, s11
	s_add_u32 s8, s23, s8
	s_addc_u32 s23, 0, s24
	s_add_u32 s8, s8, s12
	s_mul_i32 s11, s3, s11
	s_addc_u32 s8, s23, s25
	s_addc_u32 s12, s26, 0
	s_add_u32 s8, s8, s11
	s_addc_u32 s11, 0, s12
	v_add_co_u32 v1, s8, v1, s8
	s_delay_alu instid0(VALU_DEP_1) | instskip(SKIP_1) | instid1(VALU_DEP_1)
	s_cmp_lg_u32 s8, 0
	s_addc_u32 s3, s3, s11
	v_readfirstlane_b32 s8, v1
	s_mul_i32 s11, s9, s3
	s_delay_alu instid0(VALU_DEP_1)
	s_mul_hi_u32 s12, s9, s8
	s_mul_i32 s10, s10, s8
	s_add_i32 s11, s12, s11
	s_mul_i32 s9, s9, s8
	s_add_i32 s11, s11, s10
	s_mul_hi_u32 s12, s3, s9
	s_mul_i32 s23, s3, s9
	s_mul_hi_u32 s9, s8, s9
	s_mul_hi_u32 s24, s8, s11
	s_mul_i32 s8, s8, s11
	s_mul_hi_u32 s10, s3, s11
	s_add_u32 s8, s9, s8
	s_addc_u32 s9, 0, s24
	s_add_u32 s8, s8, s23
	s_mul_i32 s11, s3, s11
	s_addc_u32 s8, s9, s12
	s_addc_u32 s9, s10, 0
	s_add_u32 s8, s8, s11
	s_addc_u32 s9, 0, s9
	v_add_co_u32 v1, s8, v1, s8
	s_delay_alu instid0(VALU_DEP_1) | instskip(SKIP_1) | instid1(VALU_DEP_1)
	s_cmp_lg_u32 s8, 0
	s_addc_u32 s3, s3, s9
	v_readfirstlane_b32 s8, v1
	s_mul_i32 s9, s14, s3
	s_mul_hi_u32 s3, s14, s3
	s_delay_alu instid0(VALU_DEP_1) | instskip(NEXT) | instid1(SALU_CYCLE_1)
	s_mul_hi_u32 s8, s14, s8
	s_add_u32 s8, s8, s9
	s_addc_u32 s3, 0, s3
	s_add_u32 s8, s8, 0
	s_addc_u32 s3, s3, 0
	s_addc_u32 s8, 0, 0
	s_add_u32 s3, s3, 0
	s_addc_u32 s8, 0, s8
	s_mul_hi_u32 s9, s6, s3
	s_mul_i32 s8, s6, s8
	s_mul_i32 s10, s7, s3
	;; [unrolled: 1-line block ×3, first 2 shown]
	s_add_i32 s8, s9, s8
	v_sub_co_u32 v1, s3, s14, s3
	s_add_i32 s8, s8, s10
	s_delay_alu instid0(SALU_CYCLE_1) | instskip(SKIP_1) | instid1(VALU_DEP_1)
	s_sub_i32 s9, 0, s8
	s_cmp_lg_u32 s3, 0
	v_sub_co_u32 v2, s10, v1, s6
	s_subb_u32 s9, s9, s7
	s_cmp_lg_u32 s10, 0
	s_subb_u32 s11, s9, 0
	s_delay_alu instid0(VALU_DEP_1)
	v_cmp_le_u32_e32 vcc_lo, s6, v2
	s_cmp_ge_u32 s11, s7
	s_cselect_b32 s12, -1, 0
	s_cmp_eq_u32 s11, s7
	v_cndmask_b32_e64 v3, 0, -1, vcc_lo
	s_cselect_b32 vcc_lo, -1, 0
	s_cmp_lg_u32 s10, 0
	v_sub_co_u32 v4, s10, v2, s6
	s_subb_u32 s9, s9, s7
	s_cmp_lg_u32 s10, 0
	v_cndmask_b32_e32 v3, s12, v3, vcc_lo
	s_subb_u32 s9, s9, 0
	s_cmp_lg_u32 s3, 0
	v_cmp_le_u32_e32 vcc_lo, s6, v1
	s_subb_u32 s8, 0, s8
	s_delay_alu instid0(SALU_CYCLE_1)
	s_cmp_ge_u32 s8, s7
	v_cndmask_b32_e64 v5, 0, -1, vcc_lo
	s_cselect_b32 s6, -1, 0
	s_cmp_eq_u32 s8, s7
	v_cmp_ne_u32_e32 vcc_lo, 0, v3
	v_mov_b32_e32 v3, s9
	s_cselect_b32 s3, -1, 0
	s_delay_alu instid0(SALU_CYCLE_1) | instskip(SKIP_1) | instid1(VALU_DEP_3)
	v_cndmask_b32_e64 v5, s6, v5, s3
	v_cndmask_b32_e32 v2, v2, v4, vcc_lo
	v_cndmask_b32_e32 v3, s11, v3, vcc_lo
	s_mov_b32 s3, s15
	s_delay_alu instid0(VALU_DEP_3) | instskip(NEXT) | instid1(VALU_DEP_3)
	v_cmp_ne_u32_e32 vcc_lo, 0, v5
	v_cndmask_b32_e32 v1, v1, v2, vcc_lo
	s_delay_alu instid0(VALU_DEP_3) | instskip(NEXT) | instid1(VALU_DEP_2)
	v_cndmask_b32_e32 v3, s8, v3, vcc_lo
	v_sub_co_u32 v1, vcc_lo, v1, 0
	s_delay_alu instid0(VALU_DEP_2)
	v_subrev_co_ci_u32_e32 v2, vcc_lo, 0, v3, vcc_lo
	s_and_not1_b32 vcc_lo, exec_lo, s3
	s_cbranch_vccnz .LBB4_3
.LBB4_2:
	v_cvt_f32_u32_e32 v1, s22
	s_mov_b32 s7, 0
	s_sub_i32 s6, 0, s22
	s_delay_alu instid0(VALU_DEP_1) | instskip(SKIP_2) | instid1(VALU_DEP_1)
	v_rcp_iflag_f32_e32 v1, v1
	s_waitcnt_depctr 0xfff
	v_mul_f32_e32 v1, 0x4f7ffffe, v1
	v_cvt_u32_f32_e32 v1, v1
	s_delay_alu instid0(VALU_DEP_1) | instskip(NEXT) | instid1(VALU_DEP_1)
	v_readfirstlane_b32 s3, v1
	s_mul_i32 s6, s6, s3
	s_delay_alu instid0(SALU_CYCLE_1) | instskip(NEXT) | instid1(SALU_CYCLE_1)
	s_mul_hi_u32 s6, s3, s6
	s_add_i32 s3, s3, s6
	s_delay_alu instid0(SALU_CYCLE_1) | instskip(NEXT) | instid1(SALU_CYCLE_1)
	s_mul_hi_u32 s3, s14, s3
	s_mul_i32 s3, s3, s22
	s_delay_alu instid0(SALU_CYCLE_1) | instskip(NEXT) | instid1(SALU_CYCLE_1)
	s_sub_i32 s3, s14, s3
	s_sub_i32 s6, s3, s22
	s_cmp_ge_u32 s3, s22
	s_cselect_b32 s3, s6, s3
	s_delay_alu instid0(SALU_CYCLE_1) | instskip(SKIP_2) | instid1(SALU_CYCLE_1)
	s_sub_i32 s6, s3, s22
	s_cmp_ge_u32 s3, s22
	s_cselect_b32 s6, s6, s3
	v_dual_mov_b32 v1, s6 :: v_dual_mov_b32 v2, s7
.LBB4_3:
	s_load_b64 s[22:23], s[0:1], 0x90
	s_mov_b32 s6, 0
	s_mov_b32 s7, s5
	s_delay_alu instid0(SALU_CYCLE_1)
	s_cmp_lg_u64 s[6:7], 0
	s_cbranch_scc0 .LBB4_11
; %bb.4:
	s_ashr_i32 s8, s5, 31
	s_delay_alu instid0(SALU_CYCLE_1) | instskip(SKIP_2) | instid1(SALU_CYCLE_1)
	s_add_u32 s10, s4, s8
	s_mov_b32 s9, s8
	s_addc_u32 s11, s5, s8
	s_xor_b64 s[8:9], s[10:11], s[8:9]
	s_delay_alu instid0(SALU_CYCLE_1) | instskip(SKIP_3) | instid1(VALU_DEP_1)
	v_cvt_f32_u32_e32 v3, s8
	v_cvt_f32_u32_e32 v4, s9
	s_sub_u32 s7, 0, s8
	s_subb_u32 s10, 0, s9
	v_fmamk_f32 v3, v4, 0x4f800000, v3
	s_delay_alu instid0(VALU_DEP_1) | instskip(SKIP_2) | instid1(VALU_DEP_1)
	v_rcp_f32_e32 v3, v3
	s_waitcnt_depctr 0xfff
	v_mul_f32_e32 v3, 0x5f7ffffc, v3
	v_mul_f32_e32 v4, 0x2f800000, v3
	s_delay_alu instid0(VALU_DEP_1) | instskip(NEXT) | instid1(VALU_DEP_1)
	v_trunc_f32_e32 v4, v4
	v_fmamk_f32 v3, v4, 0xcf800000, v3
	v_cvt_u32_f32_e32 v4, v4
	s_delay_alu instid0(VALU_DEP_2) | instskip(NEXT) | instid1(VALU_DEP_2)
	v_cvt_u32_f32_e32 v3, v3
	v_readfirstlane_b32 s3, v4
	s_delay_alu instid0(VALU_DEP_2) | instskip(NEXT) | instid1(VALU_DEP_2)
	v_readfirstlane_b32 s5, v3
	s_mul_i32 s11, s7, s3
	s_delay_alu instid0(VALU_DEP_1)
	s_mul_hi_u32 s24, s7, s5
	s_mul_i32 s12, s10, s5
	s_add_i32 s11, s24, s11
	s_mul_i32 s25, s7, s5
	s_add_i32 s11, s11, s12
	s_mul_hi_u32 s24, s5, s25
	s_mul_hi_u32 s26, s3, s25
	s_mul_i32 s12, s3, s25
	s_mul_hi_u32 s25, s5, s11
	s_mul_i32 s5, s5, s11
	s_mul_hi_u32 s27, s3, s11
	s_add_u32 s5, s24, s5
	s_addc_u32 s24, 0, s25
	s_add_u32 s5, s5, s12
	s_mul_i32 s11, s3, s11
	s_addc_u32 s5, s24, s26
	s_addc_u32 s12, s27, 0
	s_add_u32 s5, s5, s11
	s_addc_u32 s11, 0, s12
	v_add_co_u32 v3, s5, v3, s5
	s_delay_alu instid0(VALU_DEP_1) | instskip(SKIP_1) | instid1(VALU_DEP_1)
	s_cmp_lg_u32 s5, 0
	s_addc_u32 s3, s3, s11
	v_readfirstlane_b32 s5, v3
	s_mul_i32 s11, s7, s3
	s_delay_alu instid0(VALU_DEP_1)
	s_mul_hi_u32 s12, s7, s5
	s_mul_i32 s10, s10, s5
	s_add_i32 s11, s12, s11
	s_mul_i32 s7, s7, s5
	s_add_i32 s11, s11, s10
	s_mul_hi_u32 s12, s3, s7
	s_mul_i32 s24, s3, s7
	s_mul_hi_u32 s7, s5, s7
	s_mul_hi_u32 s25, s5, s11
	s_mul_i32 s5, s5, s11
	s_mul_hi_u32 s10, s3, s11
	s_add_u32 s5, s7, s5
	s_addc_u32 s7, 0, s25
	s_add_u32 s5, s5, s24
	s_mul_i32 s11, s3, s11
	s_addc_u32 s5, s7, s12
	s_addc_u32 s7, s10, 0
	s_add_u32 s5, s5, s11
	s_addc_u32 s7, 0, s7
	v_add_co_u32 v3, s5, v3, s5
	s_delay_alu instid0(VALU_DEP_1) | instskip(SKIP_1) | instid1(VALU_DEP_1)
	s_cmp_lg_u32 s5, 0
	s_addc_u32 s3, s3, s7
	v_readfirstlane_b32 s5, v3
	s_mul_i32 s7, s2, s3
	s_mul_hi_u32 s3, s2, s3
	s_delay_alu instid0(VALU_DEP_1) | instskip(NEXT) | instid1(SALU_CYCLE_1)
	s_mul_hi_u32 s5, s2, s5
	s_add_u32 s5, s5, s7
	s_addc_u32 s3, 0, s3
	s_add_u32 s5, s5, 0
	s_addc_u32 s3, s3, 0
	s_addc_u32 s5, 0, 0
	s_add_u32 s3, s3, 0
	s_addc_u32 s5, 0, s5
	s_mul_hi_u32 s7, s8, s3
	s_mul_i32 s5, s8, s5
	s_mul_i32 s10, s9, s3
	;; [unrolled: 1-line block ×3, first 2 shown]
	s_add_i32 s5, s7, s5
	v_sub_co_u32 v3, s3, s2, s3
	s_add_i32 s5, s5, s10
	s_delay_alu instid0(SALU_CYCLE_1) | instskip(SKIP_1) | instid1(VALU_DEP_1)
	s_sub_i32 s7, 0, s5
	s_cmp_lg_u32 s3, 0
	v_sub_co_u32 v4, s10, v3, s8
	s_subb_u32 s7, s7, s9
	s_cmp_lg_u32 s10, 0
	s_subb_u32 s11, s7, 0
	s_delay_alu instid0(VALU_DEP_1)
	v_cmp_le_u32_e32 vcc_lo, s8, v4
	s_cmp_ge_u32 s11, s9
	s_cselect_b32 s12, -1, 0
	s_cmp_eq_u32 s11, s9
	v_cndmask_b32_e64 v5, 0, -1, vcc_lo
	s_cselect_b32 vcc_lo, -1, 0
	s_cmp_lg_u32 s10, 0
	v_sub_co_u32 v6, s10, v4, s8
	s_subb_u32 s7, s7, s9
	s_cmp_lg_u32 s10, 0
	v_cndmask_b32_e32 v5, s12, v5, vcc_lo
	s_subb_u32 s7, s7, 0
	s_cmp_lg_u32 s3, 0
	v_cmp_le_u32_e32 vcc_lo, s8, v3
	s_subb_u32 s5, 0, s5
	s_delay_alu instid0(SALU_CYCLE_1)
	s_cmp_ge_u32 s5, s9
	v_cndmask_b32_e64 v7, 0, -1, vcc_lo
	s_cselect_b32 s8, -1, 0
	s_cmp_eq_u32 s5, s9
	v_cmp_ne_u32_e32 vcc_lo, 0, v5
	v_mov_b32_e32 v5, s7
	s_cselect_b32 s3, -1, 0
	s_delay_alu instid0(SALU_CYCLE_1) | instskip(SKIP_1) | instid1(VALU_DEP_3)
	v_cndmask_b32_e64 v7, s8, v7, s3
	v_cndmask_b32_e32 v4, v4, v6, vcc_lo
	v_cndmask_b32_e32 v5, s11, v5, vcc_lo
	s_delay_alu instid0(VALU_DEP_3) | instskip(NEXT) | instid1(VALU_DEP_3)
	v_cmp_ne_u32_e32 vcc_lo, 0, v7
	v_cndmask_b32_e32 v3, v3, v4, vcc_lo
	s_delay_alu instid0(VALU_DEP_3) | instskip(NEXT) | instid1(VALU_DEP_2)
	v_cndmask_b32_e32 v5, s5, v5, vcc_lo
	v_sub_co_u32 v3, vcc_lo, v3, 0
	s_delay_alu instid0(VALU_DEP_2)
	v_subrev_co_ci_u32_e32 v4, vcc_lo, 0, v5, vcc_lo
	s_and_not1_b32 vcc_lo, exec_lo, s6
	s_cbranch_vccnz .LBB4_6
.LBB4_5:
	v_cvt_f32_u32_e32 v3, s4
	s_sub_i32 s5, 0, s4
	s_delay_alu instid0(VALU_DEP_1) | instskip(SKIP_2) | instid1(VALU_DEP_1)
	v_rcp_iflag_f32_e32 v3, v3
	s_waitcnt_depctr 0xfff
	v_mul_f32_e32 v3, 0x4f7ffffe, v3
	v_cvt_u32_f32_e32 v3, v3
	s_delay_alu instid0(VALU_DEP_1) | instskip(NEXT) | instid1(VALU_DEP_1)
	v_readfirstlane_b32 s3, v3
	s_mul_i32 s5, s5, s3
	s_delay_alu instid0(SALU_CYCLE_1) | instskip(NEXT) | instid1(SALU_CYCLE_1)
	s_mul_hi_u32 s5, s3, s5
	s_add_i32 s3, s3, s5
	s_delay_alu instid0(SALU_CYCLE_1) | instskip(NEXT) | instid1(SALU_CYCLE_1)
	s_mul_hi_u32 s3, s2, s3
	s_mul_i32 s3, s3, s4
	s_delay_alu instid0(SALU_CYCLE_1) | instskip(NEXT) | instid1(SALU_CYCLE_1)
	s_sub_i32 s3, s2, s3
	s_sub_i32 s5, s3, s4
	s_cmp_ge_u32 s3, s4
	s_cselect_b32 s3, s5, s3
	s_mov_b32 s5, 0
	s_sub_i32 s6, s3, s4
	s_cmp_ge_u32 s3, s4
	s_cselect_b32 s4, s6, s3
	s_delay_alu instid0(SALU_CYCLE_1)
	v_dual_mov_b32 v3, s4 :: v_dual_mov_b32 v4, s5
.LBB4_6:
	s_load_b64 s[24:25], s[0:1], 0xa0
	s_waitcnt lgkmcnt(0)
	v_cmp_le_f32_e64 s3, s23, 0
	v_mov_b32_e32 v7, 1.0
	s_delay_alu instid0(VALU_DEP_2)
	s_and_b32 vcc_lo, exec_lo, s3
	s_cbranch_vccnz .LBB4_8
; %bb.7:
	s_clause 0x1
	s_load_b32 s3, s[0:1], 0x28
	s_load_b64 s[4:5], s[0:1], 0x98
	s_add_i32 s7, s14, 1
	s_waitcnt lgkmcnt(0)
	s_sub_i32 s6, s14, s3
	v_mov_b32_e32 v5, s4
	s_lshl_b32 s6, s6, 1
	s_delay_alu instid0(SALU_CYCLE_1)
	s_or_b32 s4, s6, 1
	s_cmp_lt_u32 s14, s3
	s_cselect_b32 vcc_lo, -1, 0
	v_cndmask_b32_e32 v7, s5, v5, vcc_lo
	s_and_b32 s3, vcc_lo, exec_lo
	s_cselect_b32 s3, s7, s4
	s_mov_b32 s4, 0x3e76c4e1
	v_cvt_f32_i32_e32 v5, s3
	v_cmp_neq_f32_e32 vcc_lo, 1.0, v7
	s_delay_alu instid0(VALU_DEP_2) | instskip(NEXT) | instid1(VALU_DEP_1)
	v_cndmask_b32_e32 v8, 1.0, v5, vcc_lo
	v_cmp_eq_f32_e32 vcc_lo, 0, v8
	v_cndmask_b32_e64 v9, |v7|, 1.0, vcc_lo
	s_delay_alu instid0(VALU_DEP_1) | instskip(NEXT) | instid1(VALU_DEP_1)
	v_frexp_mant_f32_e32 v5, v9
	v_cmp_gt_f32_e64 s3, 0x3f2aaaab, v5
	s_delay_alu instid0(VALU_DEP_1) | instskip(NEXT) | instid1(VALU_DEP_1)
	v_cndmask_b32_e64 v6, 1.0, 2.0, s3
	v_mul_f32_e32 v5, v5, v6
	s_delay_alu instid0(VALU_DEP_1) | instskip(SKIP_1) | instid1(VALU_DEP_2)
	v_add_f32_e32 v6, 1.0, v5
	v_add_f32_e32 v11, -1.0, v5
	v_rcp_f32_e32 v10, v6
	s_waitcnt_depctr 0xfff
	v_mul_f32_e32 v12, v11, v10
	s_delay_alu instid0(VALU_DEP_1) | instskip(NEXT) | instid1(VALU_DEP_1)
	v_dual_add_f32 v13, -1.0, v6 :: v_dual_mul_f32 v14, v6, v12
	v_sub_f32_e32 v5, v5, v13
	v_cndmask_b32_e64 v7, v7, 1.0, vcc_lo
	s_delay_alu instid0(VALU_DEP_3) | instskip(NEXT) | instid1(VALU_DEP_2)
	v_fma_f32 v6, v12, v6, -v14
	v_cmp_eq_f32_e64 s5, 0, v7
	s_delay_alu instid0(VALU_DEP_2) | instskip(NEXT) | instid1(VALU_DEP_1)
	v_fmac_f32_e32 v6, v12, v5
	v_add_f32_e32 v5, v14, v6
	s_delay_alu instid0(VALU_DEP_1) | instskip(NEXT) | instid1(VALU_DEP_1)
	v_dual_sub_f32 v14, v5, v14 :: v_dual_sub_f32 v13, v11, v5
	v_dual_sub_f32 v6, v14, v6 :: v_dual_sub_f32 v11, v11, v13
	s_delay_alu instid0(VALU_DEP_1) | instskip(NEXT) | instid1(VALU_DEP_1)
	v_sub_f32_e32 v5, v11, v5
	v_add_f32_e32 v5, v6, v5
	s_delay_alu instid0(VALU_DEP_1) | instskip(NEXT) | instid1(VALU_DEP_1)
	v_add_f32_e32 v5, v13, v5
	v_mul_f32_e32 v5, v10, v5
	s_delay_alu instid0(VALU_DEP_1) | instskip(NEXT) | instid1(VALU_DEP_1)
	v_add_f32_e32 v10, v12, v5
	v_sub_f32_e32 v6, v10, v12
	v_mul_f32_e32 v11, v10, v10
	s_delay_alu instid0(VALU_DEP_2) | instskip(NEXT) | instid1(VALU_DEP_2)
	v_sub_f32_e32 v12, v5, v6
	v_fma_f32 v13, v10, v10, -v11
	s_delay_alu instid0(VALU_DEP_2) | instskip(NEXT) | instid1(VALU_DEP_1)
	v_add_f32_e32 v5, v12, v12
	v_fmac_f32_e32 v13, v10, v5
	v_cvt_f64_f32_e32 v[5:6], v9
	s_delay_alu instid0(VALU_DEP_2) | instskip(NEXT) | instid1(VALU_DEP_1)
	v_add_f32_e32 v14, v11, v13
	v_fmaak_f32 v15, s4, v14, 0x3e91f4c4
	v_sub_f32_e32 v11, v14, v11
	v_mul_f32_e32 v18, v10, v14
	s_delay_alu instid0(VALU_DEP_3) | instskip(NEXT) | instid1(VALU_DEP_3)
	v_fmaak_f32 v15, v14, v15, 0x3ecccdef
	v_sub_f32_e32 v11, v13, v11
	s_delay_alu instid0(VALU_DEP_2) | instskip(NEXT) | instid1(VALU_DEP_1)
	v_mul_f32_e32 v16, v14, v15
	v_fma_f32 v13, v14, v15, -v16
	s_delay_alu instid0(VALU_DEP_1) | instskip(NEXT) | instid1(VALU_DEP_1)
	v_fmac_f32_e32 v13, v11, v15
	v_add_f32_e32 v15, v16, v13
	v_frexp_exp_i32_f64_e32 v5, v[5:6]
	s_delay_alu instid0(VALU_DEP_2) | instskip(NEXT) | instid1(VALU_DEP_1)
	v_sub_f32_e32 v16, v15, v16
	v_sub_f32_e32 v6, v13, v16
	v_fma_f32 v16, v14, v10, -v18
	s_delay_alu instid0(VALU_DEP_2) | instskip(NEXT) | instid1(VALU_DEP_2)
	v_add_f32_e32 v6, 0x31739010, v6
	v_dual_add_f32 v17, 0x3f2aaaaa, v15 :: v_dual_fmac_f32 v16, v14, v12
	v_ldexp_f32 v12, v12, 1
	s_delay_alu instid0(VALU_DEP_2) | instskip(NEXT) | instid1(VALU_DEP_1)
	v_dual_add_f32 v13, 0xbf2aaaaa, v17 :: v_dual_fmac_f32 v16, v11, v10
	v_sub_f32_e32 v13, v15, v13
	s_delay_alu instid0(VALU_DEP_1) | instskip(NEXT) | instid1(VALU_DEP_3)
	v_add_f32_e32 v6, v6, v13
	v_add_f32_e32 v13, v18, v16
	s_delay_alu instid0(VALU_DEP_2) | instskip(NEXT) | instid1(VALU_DEP_1)
	v_add_f32_e32 v11, v17, v6
	v_sub_f32_e32 v14, v17, v11
	s_delay_alu instid0(VALU_DEP_3) | instskip(SKIP_2) | instid1(VALU_DEP_4)
	v_mul_f32_e32 v15, v13, v11
	v_sub_f32_e32 v17, v13, v18
	v_subrev_co_ci_u32_e64 v5, s3, 0, v5, s3
	v_add_f32_e32 v6, v6, v14
	s_delay_alu instid0(VALU_DEP_4) | instskip(NEXT) | instid1(VALU_DEP_4)
	v_fma_f32 v14, v13, v11, -v15
	v_sub_f32_e32 v16, v16, v17
	s_delay_alu instid0(VALU_DEP_4) | instskip(NEXT) | instid1(VALU_DEP_3)
	v_cvt_f32_i32_e32 v5, v5
	v_fmac_f32_e32 v14, v13, v6
	v_ldexp_f32 v6, v10, 1
	s_delay_alu instid0(VALU_DEP_2) | instskip(NEXT) | instid1(VALU_DEP_1)
	v_fmac_f32_e32 v14, v16, v11
	v_add_f32_e32 v10, v15, v14
	s_delay_alu instid0(VALU_DEP_1) | instskip(NEXT) | instid1(VALU_DEP_1)
	v_add_f32_e32 v11, v6, v10
	v_dual_sub_f32 v6, v11, v6 :: v_dual_sub_f32 v13, v10, v15
	s_delay_alu instid0(VALU_DEP_1) | instskip(NEXT) | instid1(VALU_DEP_2)
	v_sub_f32_e32 v6, v10, v6
	v_sub_f32_e32 v13, v14, v13
	s_delay_alu instid0(VALU_DEP_1) | instskip(NEXT) | instid1(VALU_DEP_1)
	v_add_f32_e32 v10, v12, v13
	v_dual_mul_f32 v15, 0x3f317218, v5 :: v_dual_add_f32 v6, v10, v6
	s_delay_alu instid0(VALU_DEP_1) | instskip(NEXT) | instid1(VALU_DEP_2)
	v_fma_f32 v14, 0x3f317218, v5, -v15
	v_add_f32_e32 v12, v11, v6
	s_delay_alu instid0(VALU_DEP_1) | instskip(NEXT) | instid1(VALU_DEP_1)
	v_sub_f32_e32 v11, v12, v11
	v_dual_fmamk_f32 v5, v5, 0xb102e308, v14 :: v_dual_sub_f32 v6, v6, v11
	s_delay_alu instid0(VALU_DEP_1) | instskip(NEXT) | instid1(VALU_DEP_1)
	v_add_f32_e32 v10, v15, v5
	v_add_f32_e32 v13, v10, v12
	s_delay_alu instid0(VALU_DEP_1) | instskip(NEXT) | instid1(VALU_DEP_1)
	v_dual_sub_f32 v15, v10, v15 :: v_dual_sub_f32 v14, v13, v10
	v_sub_f32_e32 v16, v13, v14
	s_delay_alu instid0(VALU_DEP_2) | instskip(NEXT) | instid1(VALU_DEP_2)
	v_sub_f32_e32 v5, v5, v15
	v_dual_sub_f32 v11, v12, v14 :: v_dual_sub_f32 v10, v10, v16
	s_delay_alu instid0(VALU_DEP_2) | instskip(NEXT) | instid1(VALU_DEP_2)
	v_add_f32_e32 v12, v5, v6
	v_add_f32_e32 v10, v11, v10
	s_delay_alu instid0(VALU_DEP_1) | instskip(NEXT) | instid1(VALU_DEP_1)
	v_add_f32_e32 v10, v12, v10
	v_dual_sub_f32 v11, v12, v5 :: v_dual_add_f32 v14, v13, v10
	s_delay_alu instid0(VALU_DEP_1) | instskip(SKIP_1) | instid1(VALU_DEP_3)
	v_sub_f32_e32 v12, v12, v11
	v_sub_f32_e32 v6, v6, v11
	v_sub_f32_e32 v11, v14, v13
	s_delay_alu instid0(VALU_DEP_3) | instskip(NEXT) | instid1(VALU_DEP_1)
	v_sub_f32_e32 v5, v5, v12
	v_add_f32_e32 v5, v6, v5
	s_delay_alu instid0(VALU_DEP_3) | instskip(NEXT) | instid1(VALU_DEP_1)
	v_sub_f32_e32 v6, v10, v11
	v_add_f32_e32 v5, v5, v6
	s_delay_alu instid0(VALU_DEP_1) | instskip(NEXT) | instid1(VALU_DEP_1)
	v_add_f32_e32 v6, v14, v5
	v_mul_f32_e32 v11, v8, v6
	v_sub_f32_e32 v10, v6, v14
	s_delay_alu instid0(VALU_DEP_2) | instskip(NEXT) | instid1(VALU_DEP_2)
	v_fma_f32 v6, v8, v6, -v11
	v_sub_f32_e32 v5, v5, v10
	v_cmp_class_f32_e64 s3, v11, 0x204
	s_delay_alu instid0(VALU_DEP_2) | instskip(NEXT) | instid1(VALU_DEP_1)
	v_fmac_f32_e32 v6, v8, v5
	v_add_f32_e32 v5, v11, v6
	s_delay_alu instid0(VALU_DEP_1) | instskip(NEXT) | instid1(VALU_DEP_1)
	v_cndmask_b32_e64 v10, v5, v11, s3
	v_cmp_eq_f32_e64 s3, 0x42b17218, v10
	s_delay_alu instid0(VALU_DEP_1) | instskip(SKIP_1) | instid1(VALU_DEP_2)
	v_cndmask_b32_e64 v12, 0, 0x37000000, s3
	v_cmp_neq_f32_e64 s3, 0x7f800000, |v10|
	v_sub_f32_e32 v13, v10, v12
	v_trunc_f32_e32 v10, v8
	s_delay_alu instid0(VALU_DEP_2) | instskip(NEXT) | instid1(VALU_DEP_1)
	v_mul_f32_e32 v14, 0x3fb8aa3b, v13
	v_fma_f32 v15, 0x3fb8aa3b, v13, -v14
	v_rndne_f32_e32 v16, v14
	s_delay_alu instid0(VALU_DEP_1) | instskip(NEXT) | instid1(VALU_DEP_1)
	v_dual_fmamk_f32 v15, v13, 0x32a5705f, v15 :: v_dual_sub_f32 v14, v14, v16
	v_add_f32_e32 v14, v14, v15
	v_sub_f32_e32 v5, v5, v11
	v_cvt_i32_f32_e32 v11, v16
	s_delay_alu instid0(VALU_DEP_3) | instskip(NEXT) | instid1(VALU_DEP_2)
	v_exp_f32_e32 v14, v14
	v_sub_f32_e32 v5, v6, v5
	s_delay_alu instid0(VALU_DEP_1)
	v_cndmask_b32_e64 v5, 0, v5, s3
	v_cmp_ngt_f32_e64 s3, 0xc2ce8ed0, v13
	s_waitcnt_depctr 0xfff
	v_ldexp_f32 v6, v14, v11
	v_mul_f32_e32 v11, 0.5, v8
	v_add_f32_e32 v5, v12, v5
	s_delay_alu instid0(VALU_DEP_3) | instskip(NEXT) | instid1(VALU_DEP_3)
	v_cndmask_b32_e64 v6, 0, v6, s3
	v_trunc_f32_e32 v14, v11
	v_cmp_nlt_f32_e64 s3, 0x42b17218, v13
	s_delay_alu instid0(VALU_DEP_2) | instskip(NEXT) | instid1(VALU_DEP_2)
	v_cmp_neq_f32_e64 s4, v14, v11
	v_cndmask_b32_e64 v6, 0x7f800000, v6, s3
	v_cmp_eq_f32_e64 s3, v10, v8
	s_delay_alu instid0(VALU_DEP_2) | instskip(NEXT) | instid1(VALU_DEP_2)
	v_fma_f32 v5, v6, v5, v6
	s_and_b32 vcc_lo, s3, s4
	v_cmp_class_f32_e64 s4, v6, 0x204
	v_cndmask_b32_e32 v10, 1.0, v7, vcc_lo
	s_delay_alu instid0(VALU_DEP_2) | instskip(SKIP_1) | instid1(VALU_DEP_2)
	v_cndmask_b32_e64 v5, v5, v6, s4
	v_cmp_gt_f32_e64 s4, 0, v8
	v_bfi_b32 v5, 0x7fffffff, v5, v10
	v_cndmask_b32_e32 v10, 0, v7, vcc_lo
	s_delay_alu instid0(VALU_DEP_3)
	s_xor_b32 s4, s4, s5
	v_cmp_eq_f32_e32 vcc_lo, 0x7f800000, v9
	v_cndmask_b32_e64 v6, 0x7f800000, 0, s4
	v_cndmask_b32_e64 v8, 0x7fc00000, v5, s3
	v_cmp_gt_f32_e64 s3, 0, v7
	s_or_b32 vcc_lo, vcc_lo, s5
	s_delay_alu instid0(VALU_DEP_3) | instskip(NEXT) | instid1(VALU_DEP_2)
	v_bfi_b32 v6, 0x7fffffff, v6, v10
	v_cndmask_b32_e64 v5, v5, v8, s3
	s_delay_alu instid0(VALU_DEP_1) | instskip(SKIP_1) | instid1(VALU_DEP_2)
	v_cndmask_b32_e32 v5, v5, v6, vcc_lo
	v_cmp_o_f32_e32 vcc_lo, v7, v7
	v_cndmask_b32_e32 v7, 0x7fc00000, v5, vcc_lo
.LBB4_8:
	s_load_b256 s[4:11], s[0:1], 0x0
	s_waitcnt lgkmcnt(0)
	s_cmp_lg_u64 s[8:9], 0
	s_cselect_b32 s1, -1, 0
	s_cmp_eq_u64 s[8:9], 0
	s_cbranch_scc1 .LBB4_12
; %bb.9:
	s_lshl_b64 s[26:27], s[14:15], 2
	s_delay_alu instid0(SALU_CYCLE_1)
	s_add_u32 s26, s8, s26
	s_addc_u32 s27, s9, s27
	s_load_b32 s12, s[26:27], 0x0
	s_branch .LBB4_13
.LBB4_10:
                                        ; implicit-def: $vgpr1_vgpr2
	s_branch .LBB4_2
.LBB4_11:
                                        ; implicit-def: $vgpr3_vgpr4
	s_branch .LBB4_5
.LBB4_12:
	s_mov_b32 s12, 0xff800000
.LBB4_13:
	v_mul_lo_u32 v8, v1, s19
	v_mul_hi_u32 v9, v1, s18
	s_mul_i32 s0, s25, s2
	v_mul_lo_u32 v2, v2, s18
	s_add_i32 s0, s0, s14
	v_mul_lo_u32 v10, v3, s21
	v_mul_hi_u32 v11, v3, s20
	s_mul_i32 s0, s0, s24
	v_mul_lo_u32 v4, v4, s20
	v_dual_mov_b32 v9, 0 :: v_dual_add_nc_u32 v8, v9, v8
	s_add_i32 s2, s0, s13
	v_lshlrev_b32_e32 v5, 2, v0
	s_ashr_i32 s3, s2, 31
	s_delay_alu instid0(VALU_DEP_2)
	v_add_nc_u32_e32 v2, v8, v2
	s_lshl_b64 s[24:25], s[2:3], 14
	v_add_nc_u32_e32 v8, v11, v10
	s_add_u32 s4, s4, s24
	s_addc_u32 s5, s5, s25
	v_mul_lo_u32 v1, v1, s18
	s_mul_i32 s0, s17, s13
	v_add_nc_u32_e32 v4, v8, v4
	v_mov_b32_e32 v8, 0
	global_load_b32 v6, v5, s[4:5]
	s_mul_hi_u32 s17, s16, s13
	v_mul_lo_u32 v3, v3, s20
	s_add_i32 s17, s17, s0
	s_mul_i32 s0, s16, s13
	s_cmp_lg_u64 s[6:7], 0
	v_add_co_u32 v1, vcc_lo, v1, s0
	v_add_co_ci_u32_e32 v2, vcc_lo, s17, v2, vcc_lo
	s_cselect_b32 s0, -1, 0
	s_delay_alu instid0(VALU_DEP_2) | instskip(NEXT) | instid1(VALU_DEP_2)
	v_add_co_u32 v1, vcc_lo, v1, v3
	v_add_co_ci_u32_e32 v2, vcc_lo, v2, v4, vcc_lo
	v_lshlrev_b32_e32 v3, 1, v0
	s_delay_alu instid0(VALU_DEP_2) | instskip(NEXT) | instid1(VALU_DEP_1)
	v_lshrrev_b64 v[1:2], 1, v[1:2]
	v_cndmask_b32_e64 v2, 0, v2, s0
	s_delay_alu instid0(VALU_DEP_2) | instskip(NEXT) | instid1(VALU_DEP_1)
	v_cndmask_b32_e64 v1, 0, v1, s0
	v_lshlrev_b64 v[1:2], 1, v[1:2]
	s_delay_alu instid0(VALU_DEP_1) | instskip(NEXT) | instid1(VALU_DEP_2)
	v_add_co_u32 v10, vcc_lo, s6, v1
	v_add_co_ci_u32_e32 v11, vcc_lo, s7, v2, vcc_lo
	s_and_b32 vcc_lo, exec_lo, s0
	s_cbranch_vccz .LBB4_15
; %bb.14:
	s_delay_alu instid0(VALU_DEP_2) | instskip(NEXT) | instid1(VALU_DEP_2)
	v_readfirstlane_b32 s6, v10
	v_readfirstlane_b32 s7, v11
	global_load_u16 v1, v3, s[6:7]
	s_waitcnt vmcnt(0)
	v_cvt_f32_f16_e32 v1, v1
	s_delay_alu instid0(VALU_DEP_1)
	v_mul_f32_e32 v9, v7, v1
.LBB4_15:
	v_or_b32_e32 v1, 0x400, v0
	v_cndmask_b32_e64 v13, 0, 1, s0
	s_waitcnt vmcnt(0)
	s_delay_alu instid0(VALU_DEP_3)
	v_fmac_f32_e32 v9, s22, v6
	v_lshl_add_u32 v2, v0, 2, 0
	s_and_not1_b32 vcc_lo, exec_lo, s0
	v_lshlrev_b32_e32 v1, 2, v1
	ds_store_b32 v2, v9 offset:128
	global_load_b32 v4, v1, s[4:5]
	s_cbranch_vccnz .LBB4_17
; %bb.16:
	v_readfirstlane_b32 s6, v10
	v_readfirstlane_b32 s7, v11
	global_load_u16 v3, v3, s[6:7] offset:2048
	s_waitcnt vmcnt(0)
	v_cvt_f32_f16_e32 v3, v3
	s_delay_alu instid0(VALU_DEP_1)
	v_mul_f32_e32 v8, v7, v3
.LBB4_17:
	v_or_b32_e32 v6, 0x800, v0
	v_cmp_ne_u32_e32 vcc_lo, 1, v13
	v_mov_b32_e32 v12, 0
	v_mov_b32_e32 v14, 0
	s_waitcnt vmcnt(0)
	v_dual_fmac_f32 v8, s22, v4 :: v_dual_lshlrev_b32 v3, 2, v6
	v_add3_u32 v4, 0, 0x80, v5
	global_load_b32 v15, v3, s[4:5]
	ds_store_b32 v4, v8 offset:4096
	s_cbranch_vccnz .LBB4_19
; %bb.18:
	v_lshlrev_b32_e32 v6, 1, v6
	v_readfirstlane_b32 s6, v10
	v_readfirstlane_b32 s7, v11
	global_load_u16 v6, v6, s[6:7]
	s_waitcnt vmcnt(0)
	v_cvt_f32_f16_e32 v6, v6
	s_delay_alu instid0(VALU_DEP_1)
	v_mul_f32_e32 v14, v7, v6
.LBB4_19:
	v_or_b32_e32 v17, 0xc00, v0
	v_cmp_ne_u32_e32 vcc_lo, 1, v13
	s_waitcnt vmcnt(0)
	s_delay_alu instid0(VALU_DEP_3) | instskip(NEXT) | instid1(VALU_DEP_3)
	v_fmac_f32_e32 v14, s22, v15
	v_lshlrev_b32_e32 v6, 2, v17
	ds_store_b32 v4, v14 offset:8192
	global_load_b32 v16, v6, s[4:5]
	s_cbranch_vccnz .LBB4_21
; %bb.20:
	v_lshlrev_b32_e32 v12, 1, v17
	v_readfirstlane_b32 s4, v10
	v_readfirstlane_b32 s5, v11
	global_load_u16 v10, v12, s[4:5]
	s_waitcnt vmcnt(0)
	v_cvt_f32_f16_e32 v10, v10
	s_delay_alu instid0(VALU_DEP_1)
	v_mul_f32_e32 v12, v7, v10
.LBB4_21:
	v_mbcnt_lo_u32_b32 v11, -1, 0
	s_waitcnt lgkmcnt(0)
	v_max3_f32 v8, s12, v9, v8
	s_delay_alu instid0(VALU_DEP_2) | instskip(SKIP_1) | instid1(VALU_DEP_2)
	v_xor_b32_e32 v7, 16, v11
	v_xor_b32_e32 v10, 8, v11
	v_cmp_gt_i32_e32 vcc_lo, 32, v7
	s_waitcnt vmcnt(0)
	v_dual_fmac_f32 v12, s22, v16 :: v_dual_cndmask_b32 v7, v11, v7
	s_delay_alu instid0(VALU_DEP_1)
	v_max3_f32 v9, v8, v14, v12
	v_cmp_gt_i32_e32 vcc_lo, 32, v10
	ds_store_b32 v4, v12 offset:12288
	v_dual_cndmask_b32 v10, v11, v10 :: v_dual_lshlrev_b32 v7, 2, v7
	ds_bpermute_b32 v8, v7, v9
	s_waitcnt lgkmcnt(0)
	v_dual_max_f32 v13, v8, v8 :: v_dual_lshlrev_b32 v8, 2, v10
	s_delay_alu instid0(VALU_DEP_1)
	v_max_f32_e32 v10, v9, v13
	v_xor_b32_e32 v13, 4, v11
	ds_bpermute_b32 v9, v8, v10
	v_cmp_gt_i32_e32 vcc_lo, 32, v13
	v_cndmask_b32_e32 v13, v11, v13, vcc_lo
	s_waitcnt lgkmcnt(0)
	v_max_f32_e32 v14, v9, v9
	s_delay_alu instid0(VALU_DEP_2) | instskip(NEXT) | instid1(VALU_DEP_2)
	v_lshlrev_b32_e32 v9, 2, v13
	v_max_f32_e32 v13, v10, v14
	v_xor_b32_e32 v14, 2, v11
	s_delay_alu instid0(VALU_DEP_1) | instskip(SKIP_4) | instid1(VALU_DEP_1)
	v_cmp_gt_i32_e32 vcc_lo, 32, v14
	v_cndmask_b32_e32 v14, v11, v14, vcc_lo
	ds_bpermute_b32 v10, v9, v13
	s_waitcnt lgkmcnt(0)
	v_max_f32_e32 v15, v10, v10
	v_dual_max_f32 v13, v13, v15 :: v_dual_lshlrev_b32 v10, 2, v14
	v_xor_b32_e32 v15, 1, v11
	ds_bpermute_b32 v14, v10, v13
	v_cmp_gt_i32_e32 vcc_lo, 32, v15
	v_cndmask_b32_e32 v11, v11, v15, vcc_lo
	s_waitcnt lgkmcnt(0)
	s_delay_alu instid0(VALU_DEP_1) | instskip(NEXT) | instid1(VALU_DEP_1)
	v_dual_max_f32 v14, v14, v14 :: v_dual_lshlrev_b32 v11, 2, v11
	v_dual_max_f32 v14, v13, v14 :: v_dual_and_b32 v13, 31, v0
	v_lshrrev_b32_e32 v0, 3, v0
	ds_bpermute_b32 v15, v11, v14
	v_cmp_eq_u32_e32 vcc_lo, 0, v13
	s_and_saveexec_b32 s0, vcc_lo
	s_delay_alu instid0(SALU_CYCLE_1)
	s_xor_b32 s0, exec_lo, s0
	s_cbranch_execz .LBB4_23
; %bb.22:
	s_waitcnt lgkmcnt(0)
	v_max_f32_e32 v12, v15, v15
	v_max_f32_e32 v14, v14, v14
	s_delay_alu instid0(VALU_DEP_1)
	v_max_f32_e32 v12, v14, v12
	v_add_nc_u32_e32 v14, 0, v0
	ds_store_b32 v14, v12
.LBB4_23:
	s_or_b32 exec_lo, exec_lo, s0
	v_lshl_add_u32 v12, v13, 2, 0
	s_waitcnt lgkmcnt(0)
	s_barrier
	buffer_gl0_inv
	ds_load_b32 v13, v12
	ds_load_b32 v16, v2 offset:128
	ds_load_b32 v17, v4 offset:12288
	s_waitcnt lgkmcnt(2)
	ds_bpermute_b32 v14, v7, v13
	s_waitcnt lgkmcnt(0)
	v_dual_max_f32 v13, v13, v13 :: v_dual_max_f32 v14, v14, v14
	s_delay_alu instid0(VALU_DEP_1) | instskip(SKIP_3) | instid1(VALU_DEP_1)
	v_max_f32_e32 v13, v13, v14
	ds_bpermute_b32 v14, v8, v13
	s_waitcnt lgkmcnt(0)
	v_max_f32_e32 v14, v14, v14
	v_max_f32_e32 v13, v13, v14
	ds_bpermute_b32 v14, v9, v13
	s_waitcnt lgkmcnt(0)
	v_max_f32_e32 v14, v14, v14
	s_delay_alu instid0(VALU_DEP_1) | instskip(SKIP_3) | instid1(VALU_DEP_1)
	v_max_f32_e32 v13, v13, v14
	ds_bpermute_b32 v14, v10, v13
	s_waitcnt lgkmcnt(0)
	v_max_f32_e32 v14, v14, v14
	v_max_f32_e32 v13, v13, v14
	ds_load_2addr_stride64_b32 v[14:15], v4 offset0:16 offset1:32
	ds_bpermute_b32 v18, v11, v13
	s_waitcnt lgkmcnt(0)
	v_max_f32_e32 v18, v18, v18
	s_delay_alu instid0(VALU_DEP_1) | instskip(NEXT) | instid1(VALU_DEP_1)
	v_max_f32_e32 v13, v13, v18
	v_sub_f32_e32 v15, v15, v13
	s_delay_alu instid0(VALU_DEP_1) | instskip(NEXT) | instid1(VALU_DEP_1)
	v_mul_f32_e32 v20, 0x3fb8aa3b, v15
	v_fma_f32 v26, 0x3fb8aa3b, v15, -v20
	v_rndne_f32_e32 v27, v20
	s_delay_alu instid0(VALU_DEP_2) | instskip(SKIP_3) | instid1(VALU_DEP_2)
	v_fmac_f32_e32 v26, 0x32a5705f, v15
	v_sub_f32_e32 v14, v14, v13
	v_sub_f32_e32 v16, v16, v13
	;; [unrolled: 1-line block ×3, first 2 shown]
	v_dual_mul_f32 v19, 0x3fb8aa3b, v14 :: v_dual_mul_f32 v18, 0x3fb8aa3b, v16
	s_delay_alu instid0(VALU_DEP_2) | instskip(SKIP_1) | instid1(VALU_DEP_3)
	v_mul_f32_e32 v21, 0x3fb8aa3b, v17
	v_cmp_ngt_f32_e64 s0, 0xc2ce8ed0, v16
	v_fma_f32 v24, 0x3fb8aa3b, v14, -v19
	s_delay_alu instid0(VALU_DEP_4) | instskip(SKIP_3) | instid1(VALU_DEP_4)
	v_fma_f32 v22, 0x3fb8aa3b, v16, -v18
	v_rndne_f32_e32 v23, v18
	v_rndne_f32_e32 v25, v19
	v_fma_f32 v28, 0x3fb8aa3b, v17, -v21
	v_fmac_f32_e32 v22, 0x32a5705f, v16
	s_delay_alu instid0(VALU_DEP_3) | instskip(NEXT) | instid1(VALU_DEP_3)
	v_dual_sub_f32 v18, v18, v23 :: v_dual_sub_f32 v19, v19, v25
	v_fmac_f32_e32 v28, 0x32a5705f, v17
	v_cvt_i32_f32_e32 v23, v23
	s_delay_alu instid0(VALU_DEP_3) | instskip(SKIP_2) | instid1(VALU_DEP_3)
	v_add_f32_e32 v18, v18, v22
	v_rndne_f32_e32 v22, v21
	v_sub_f32_e32 v20, v20, v27
	v_exp_f32_e32 v18, v18
	s_delay_alu instid0(VALU_DEP_2) | instskip(SKIP_1) | instid1(VALU_DEP_3)
	v_sub_f32_e32 v21, v21, v22
	v_fmac_f32_e32 v24, 0x32a5705f, v14
	v_add_f32_e32 v20, v20, v26
	v_cvt_i32_f32_e32 v22, v22
	s_delay_alu instid0(VALU_DEP_4) | instskip(NEXT) | instid1(VALU_DEP_4)
	v_add_f32_e32 v21, v21, v28
	v_add_f32_e32 v19, v19, v24
	s_delay_alu instid0(VALU_DEP_4) | instskip(SKIP_1) | instid1(TRANS32_DEP_2)
	v_exp_f32_e32 v20, v20
	v_cvt_i32_f32_e32 v24, v25
	v_ldexp_f32 v18, v18, v23
	v_cvt_i32_f32_e32 v25, v27
	v_exp_f32_e32 v19, v19
	v_exp_f32_e32 v21, v21
	s_delay_alu instid0(VALU_DEP_2) | instskip(SKIP_1) | instid1(TRANS32_DEP_3)
	v_cndmask_b32_e64 v18, 0, v18, s0
	v_cmp_ngt_f32_e64 s0, 0xc2ce8ed0, v14
	v_ldexp_f32 v20, v20, v25
	s_waitcnt_depctr 0xfff
	v_ldexp_f32 v19, v19, v24
	s_delay_alu instid0(VALU_DEP_1) | instskip(SKIP_1) | instid1(VALU_DEP_1)
	v_cndmask_b32_e64 v19, 0, v19, s0
	v_cmp_ngt_f32_e64 s0, 0xc2ce8ed0, v15
	v_cndmask_b32_e64 v20, 0, v20, s0
	v_cmp_nlt_f32_e64 s0, 0x42b17218, v16
	s_delay_alu instid0(VALU_DEP_1) | instskip(SKIP_2) | instid1(VALU_DEP_2)
	v_cndmask_b32_e64 v16, 0x7f800000, v18, s0
	v_cmp_nlt_f32_e64 s0, 0x42b17218, v14
	v_ldexp_f32 v14, v21, v22
	v_cndmask_b32_e64 v18, 0x7f800000, v19, s0
	v_cmp_nlt_f32_e64 s0, 0x42b17218, v15
	s_delay_alu instid0(VALU_DEP_2) | instskip(NEXT) | instid1(VALU_DEP_2)
	v_add_f32_e32 v15, v16, v18
	v_cndmask_b32_e64 v19, 0x7f800000, v20, s0
	v_cmp_ngt_f32_e64 s0, 0xc2ce8ed0, v17
	s_delay_alu instid0(VALU_DEP_2) | instskip(NEXT) | instid1(VALU_DEP_2)
	v_add_f32_e32 v15, v15, v19
	v_cndmask_b32_e64 v14, 0, v14, s0
	v_cmp_nlt_f32_e64 s0, 0x42b17218, v17
	s_delay_alu instid0(VALU_DEP_1)
	v_cndmask_b32_e64 v17, 0x7f800000, v14, s0
	ds_store_2addr_stride64_b32 v4, v18, v19 offset0:16 offset1:32
	ds_store_b32 v2, v16 offset:128
	ds_store_b32 v4, v17 offset:12288
	v_add_f32_e32 v14, v15, v17
	ds_bpermute_b32 v15, v7, v14
	s_waitcnt lgkmcnt(0)
	v_add_f32_e32 v14, v14, v15
	ds_bpermute_b32 v15, v8, v14
	s_waitcnt lgkmcnt(0)
	;; [unrolled: 3-line block ×4, first 2 shown]
	v_add_f32_e32 v14, v14, v15
	ds_bpermute_b32 v15, v11, v14
	s_and_saveexec_b32 s0, vcc_lo
	s_cbranch_execz .LBB4_25
; %bb.24:
	s_waitcnt lgkmcnt(0)
	v_add_f32_e32 v14, v14, v15
	v_add_nc_u32_e32 v0, 0, v0
	ds_store_b32 v0, v14
.LBB4_25:
	s_or_b32 exec_lo, exec_lo, s0
	s_waitcnt lgkmcnt(0)
	s_barrier
	buffer_gl0_inv
	ds_load_b32 v0, v12
	s_and_not1_b32 vcc_lo, exec_lo, s1
	s_lshl_b64 s[0:1], s[2:3], 12
	s_waitcnt lgkmcnt(0)
	ds_bpermute_b32 v7, v7, v0
	s_waitcnt lgkmcnt(0)
	v_add_f32_e32 v0, v0, v7
	ds_bpermute_b32 v7, v8, v0
	s_waitcnt lgkmcnt(0)
	v_add_f32_e32 v0, v0, v7
	;; [unrolled: 3-line block ×5, first 2 shown]
	s_cbranch_vccnz .LBB4_27
; %bb.26:
	s_lshl_b64 s[2:3], s[14:15], 2
	s_delay_alu instid0(SALU_CYCLE_1) | instskip(SKIP_4) | instid1(VALU_DEP_1)
	s_add_u32 s2, s8, s2
	s_addc_u32 s3, s9, s3
	s_load_b32 s2, s[2:3], 0x0
	s_waitcnt lgkmcnt(0)
	v_sub_f32_e32 v7, s2, v13
	v_mul_f32_e32 v8, 0x3fb8aa3b, v7
	s_delay_alu instid0(VALU_DEP_1) | instskip(SKIP_1) | instid1(VALU_DEP_1)
	v_fma_f32 v9, 0x3fb8aa3b, v7, -v8
	v_rndne_f32_e32 v10, v8
	v_sub_f32_e32 v8, v8, v10
	v_cmp_ngt_f32_e32 vcc_lo, 0xc2ce8ed0, v7
	s_delay_alu instid0(VALU_DEP_4) | instskip(NEXT) | instid1(VALU_DEP_1)
	v_fmamk_f32 v9, v7, 0x32a5705f, v9
	v_add_f32_e32 v8, v8, v9
	v_cvt_i32_f32_e32 v9, v10
	s_delay_alu instid0(VALU_DEP_2) | instskip(SKIP_2) | instid1(VALU_DEP_1)
	v_exp_f32_e32 v8, v8
	s_waitcnt_depctr 0xfff
	v_ldexp_f32 v8, v8, v9
	v_cndmask_b32_e32 v8, 0, v8, vcc_lo
	v_cmp_nlt_f32_e32 vcc_lo, 0x42b17218, v7
	s_delay_alu instid0(VALU_DEP_2) | instskip(NEXT) | instid1(VALU_DEP_1)
	v_cndmask_b32_e32 v7, 0x7f800000, v8, vcc_lo
	v_add_f32_e32 v0, v0, v7
.LBB4_27:
	s_delay_alu instid0(VALU_DEP_1) | instskip(SKIP_2) | instid1(VALU_DEP_2)
	v_div_scale_f32 v9, null, v0, v0, 1.0
	v_div_scale_f32 v11, vcc_lo, 1.0, v0, 1.0
	s_lshl_b64 s[0:1], s[0:1], 2
	v_rcp_f32_e32 v10, v9
	s_add_u32 s0, s10, s0
	s_addc_u32 s1, s11, s1
	s_waitcnt_depctr 0xfff
	v_fma_f32 v7, -v9, v10, 1.0
	s_delay_alu instid0(VALU_DEP_1) | instskip(NEXT) | instid1(VALU_DEP_1)
	v_fmac_f32_e32 v10, v7, v10
	v_mul_f32_e32 v12, v11, v10
	s_delay_alu instid0(VALU_DEP_1) | instskip(NEXT) | instid1(VALU_DEP_1)
	v_fma_f32 v7, -v9, v12, v11
	v_fmac_f32_e32 v12, v7, v10
	ds_load_b32 v2, v2 offset:128
	ds_load_2addr_stride64_b32 v[7:8], v4 offset0:16 offset1:32
	ds_load_b32 v4, v4 offset:12288
	v_fma_f32 v9, -v9, v12, v11
	s_delay_alu instid0(VALU_DEP_1) | instskip(NEXT) | instid1(VALU_DEP_1)
	v_div_fmas_f32 v9, v9, v10, v12
	v_div_fixup_f32 v0, v9, v0, 1.0
	s_waitcnt lgkmcnt(1)
	s_delay_alu instid0(VALU_DEP_1)
	v_mul_f32_e32 v7, v0, v7
	v_mul_f32_e32 v2, v0, v2
	;; [unrolled: 1-line block ×3, first 2 shown]
	s_waitcnt lgkmcnt(0)
	v_mul_f32_e32 v0, v0, v4
	s_clause 0x3
	global_store_b32 v5, v2, s[0:1]
	global_store_b32 v1, v7, s[0:1]
	global_store_b32 v3, v8, s[0:1]
	global_store_b32 v6, v0, s[0:1]
	s_nop 0
	s_sendmsg sendmsg(MSG_DEALLOC_VGPRS)
	s_endpgm
	.section	.rodata,"a",@progbits
	.p2align	6, 0x0
	.amdhsa_kernel _ZL12soft_max_f32ILb1ELi4096ELi1024E6__halfEvPKfPKT2_S2_Pf15soft_max_params
		.amdhsa_group_segment_fixed_size 0
		.amdhsa_private_segment_fixed_size 0
		.amdhsa_kernarg_size 416
		.amdhsa_user_sgpr_count 13
		.amdhsa_user_sgpr_dispatch_ptr 0
		.amdhsa_user_sgpr_queue_ptr 0
		.amdhsa_user_sgpr_kernarg_segment_ptr 1
		.amdhsa_user_sgpr_dispatch_id 0
		.amdhsa_user_sgpr_private_segment_size 0
		.amdhsa_wavefront_size32 1
		.amdhsa_uses_dynamic_stack 0
		.amdhsa_enable_private_segment 0
		.amdhsa_system_sgpr_workgroup_id_x 1
		.amdhsa_system_sgpr_workgroup_id_y 1
		.amdhsa_system_sgpr_workgroup_id_z 1
		.amdhsa_system_sgpr_workgroup_info 0
		.amdhsa_system_vgpr_workitem_id 0
		.amdhsa_next_free_vgpr 29
		.amdhsa_next_free_sgpr 28
		.amdhsa_reserve_vcc 1
		.amdhsa_float_round_mode_32 0
		.amdhsa_float_round_mode_16_64 0
		.amdhsa_float_denorm_mode_32 3
		.amdhsa_float_denorm_mode_16_64 3
		.amdhsa_dx10_clamp 1
		.amdhsa_ieee_mode 1
		.amdhsa_fp16_overflow 0
		.amdhsa_workgroup_processor_mode 1
		.amdhsa_memory_ordered 1
		.amdhsa_forward_progress 0
		.amdhsa_shared_vgpr_count 0
		.amdhsa_exception_fp_ieee_invalid_op 0
		.amdhsa_exception_fp_denorm_src 0
		.amdhsa_exception_fp_ieee_div_zero 0
		.amdhsa_exception_fp_ieee_overflow 0
		.amdhsa_exception_fp_ieee_underflow 0
		.amdhsa_exception_fp_ieee_inexact 0
		.amdhsa_exception_int_div_zero 0
	.end_amdhsa_kernel
	.section	.text._ZL12soft_max_f32ILb1ELi4096ELi1024E6__halfEvPKfPKT2_S2_Pf15soft_max_params,"axG",@progbits,_ZL12soft_max_f32ILb1ELi4096ELi1024E6__halfEvPKfPKT2_S2_Pf15soft_max_params,comdat
.Lfunc_end4:
	.size	_ZL12soft_max_f32ILb1ELi4096ELi1024E6__halfEvPKfPKT2_S2_Pf15soft_max_params, .Lfunc_end4-_ZL12soft_max_f32ILb1ELi4096ELi1024E6__halfEvPKfPKT2_S2_Pf15soft_max_params
                                        ; -- End function
	.section	.AMDGPU.csdata,"",@progbits
; Kernel info:
; codeLenInByte = 4988
; NumSgprs: 30
; NumVgprs: 29
; ScratchSize: 0
; MemoryBound: 0
; FloatMode: 240
; IeeeMode: 1
; LDSByteSize: 0 bytes/workgroup (compile time only)
; SGPRBlocks: 3
; VGPRBlocks: 3
; NumSGPRsForWavesPerEU: 30
; NumVGPRsForWavesPerEU: 29
; Occupancy: 16
; WaveLimiterHint : 1
; COMPUTE_PGM_RSRC2:SCRATCH_EN: 0
; COMPUTE_PGM_RSRC2:USER_SGPR: 13
; COMPUTE_PGM_RSRC2:TRAP_HANDLER: 0
; COMPUTE_PGM_RSRC2:TGID_X_EN: 1
; COMPUTE_PGM_RSRC2:TGID_Y_EN: 1
; COMPUTE_PGM_RSRC2:TGID_Z_EN: 1
; COMPUTE_PGM_RSRC2:TIDIG_COMP_CNT: 0
	.section	.text._ZL12soft_max_f32ILb1ELi2048ELi1024E6__halfEvPKfPKT2_S2_Pf15soft_max_params,"axG",@progbits,_ZL12soft_max_f32ILb1ELi2048ELi1024E6__halfEvPKfPKT2_S2_Pf15soft_max_params,comdat
	.globl	_ZL12soft_max_f32ILb1ELi2048ELi1024E6__halfEvPKfPKT2_S2_Pf15soft_max_params ; -- Begin function _ZL12soft_max_f32ILb1ELi2048ELi1024E6__halfEvPKfPKT2_S2_Pf15soft_max_params
	.p2align	8
	.type	_ZL12soft_max_f32ILb1ELi2048ELi1024E6__halfEvPKfPKT2_S2_Pf15soft_max_params,@function
_ZL12soft_max_f32ILb1ELi2048ELi1024E6__halfEvPKfPKT2_S2_Pf15soft_max_params: ; @_ZL12soft_max_f32ILb1ELi2048ELi1024E6__halfEvPKfPKT2_S2_Pf15soft_max_params
; %bb.0:
	s_clause 0x1
	s_load_b256 s[16:23], s[0:1], 0x68
	s_load_b64 s[4:5], s[0:1], 0x88
	s_mov_b32 s2, s15
	s_mov_b32 s15, 0
	s_delay_alu instid0(SALU_CYCLE_1) | instskip(SKIP_2) | instid1(SALU_CYCLE_1)
	s_mov_b32 s6, s15
	s_waitcnt lgkmcnt(0)
	s_mov_b32 s7, s23
	s_cmp_lg_u64 s[6:7], 0
	s_cbranch_scc0 .LBB5_10
; %bb.1:
	s_ashr_i32 s6, s23, 31
	s_delay_alu instid0(SALU_CYCLE_1) | instskip(SKIP_2) | instid1(SALU_CYCLE_1)
	s_add_u32 s8, s22, s6
	s_mov_b32 s7, s6
	s_addc_u32 s9, s23, s6
	s_xor_b64 s[6:7], s[8:9], s[6:7]
	s_delay_alu instid0(SALU_CYCLE_1) | instskip(SKIP_3) | instid1(VALU_DEP_1)
	v_cvt_f32_u32_e32 v1, s6
	v_cvt_f32_u32_e32 v2, s7
	s_sub_u32 s9, 0, s6
	s_subb_u32 s10, 0, s7
	v_fmamk_f32 v1, v2, 0x4f800000, v1
	s_delay_alu instid0(VALU_DEP_1) | instskip(SKIP_2) | instid1(VALU_DEP_1)
	v_rcp_f32_e32 v1, v1
	s_waitcnt_depctr 0xfff
	v_mul_f32_e32 v1, 0x5f7ffffc, v1
	v_mul_f32_e32 v2, 0x2f800000, v1
	s_delay_alu instid0(VALU_DEP_1) | instskip(NEXT) | instid1(VALU_DEP_1)
	v_trunc_f32_e32 v2, v2
	v_fmamk_f32 v1, v2, 0xcf800000, v1
	v_cvt_u32_f32_e32 v2, v2
	s_delay_alu instid0(VALU_DEP_2) | instskip(NEXT) | instid1(VALU_DEP_2)
	v_cvt_u32_f32_e32 v1, v1
	v_readfirstlane_b32 s3, v2
	s_delay_alu instid0(VALU_DEP_2) | instskip(NEXT) | instid1(VALU_DEP_2)
	v_readfirstlane_b32 s8, v1
	s_mul_i32 s11, s9, s3
	s_delay_alu instid0(VALU_DEP_1)
	s_mul_hi_u32 s23, s9, s8
	s_mul_i32 s12, s10, s8
	s_add_i32 s11, s23, s11
	s_mul_i32 s24, s9, s8
	s_add_i32 s11, s11, s12
	s_mul_hi_u32 s23, s8, s24
	s_mul_hi_u32 s25, s3, s24
	s_mul_i32 s12, s3, s24
	s_mul_hi_u32 s24, s8, s11
	s_mul_i32 s8, s8, s11
	s_mul_hi_u32 s26, s3, s11
	s_add_u32 s8, s23, s8
	s_addc_u32 s23, 0, s24
	s_add_u32 s8, s8, s12
	s_mul_i32 s11, s3, s11
	s_addc_u32 s8, s23, s25
	s_addc_u32 s12, s26, 0
	s_add_u32 s8, s8, s11
	s_addc_u32 s11, 0, s12
	v_add_co_u32 v1, s8, v1, s8
	s_delay_alu instid0(VALU_DEP_1) | instskip(SKIP_1) | instid1(VALU_DEP_1)
	s_cmp_lg_u32 s8, 0
	s_addc_u32 s3, s3, s11
	v_readfirstlane_b32 s8, v1
	s_mul_i32 s11, s9, s3
	s_delay_alu instid0(VALU_DEP_1)
	s_mul_hi_u32 s12, s9, s8
	s_mul_i32 s10, s10, s8
	s_add_i32 s11, s12, s11
	s_mul_i32 s9, s9, s8
	s_add_i32 s11, s11, s10
	s_mul_hi_u32 s12, s3, s9
	s_mul_i32 s23, s3, s9
	s_mul_hi_u32 s9, s8, s9
	s_mul_hi_u32 s24, s8, s11
	s_mul_i32 s8, s8, s11
	s_mul_hi_u32 s10, s3, s11
	s_add_u32 s8, s9, s8
	s_addc_u32 s9, 0, s24
	s_add_u32 s8, s8, s23
	s_mul_i32 s11, s3, s11
	s_addc_u32 s8, s9, s12
	s_addc_u32 s9, s10, 0
	s_add_u32 s8, s8, s11
	s_addc_u32 s9, 0, s9
	v_add_co_u32 v1, s8, v1, s8
	s_delay_alu instid0(VALU_DEP_1) | instskip(SKIP_1) | instid1(VALU_DEP_1)
	s_cmp_lg_u32 s8, 0
	s_addc_u32 s3, s3, s9
	v_readfirstlane_b32 s8, v1
	s_mul_i32 s9, s14, s3
	s_mul_hi_u32 s3, s14, s3
	s_delay_alu instid0(VALU_DEP_1) | instskip(NEXT) | instid1(SALU_CYCLE_1)
	s_mul_hi_u32 s8, s14, s8
	s_add_u32 s8, s8, s9
	s_addc_u32 s3, 0, s3
	s_add_u32 s8, s8, 0
	s_addc_u32 s3, s3, 0
	s_addc_u32 s8, 0, 0
	s_add_u32 s3, s3, 0
	s_addc_u32 s8, 0, s8
	s_mul_hi_u32 s9, s6, s3
	s_mul_i32 s8, s6, s8
	s_mul_i32 s10, s7, s3
	;; [unrolled: 1-line block ×3, first 2 shown]
	s_add_i32 s8, s9, s8
	v_sub_co_u32 v1, s3, s14, s3
	s_add_i32 s8, s8, s10
	s_delay_alu instid0(SALU_CYCLE_1) | instskip(SKIP_1) | instid1(VALU_DEP_1)
	s_sub_i32 s9, 0, s8
	s_cmp_lg_u32 s3, 0
	v_sub_co_u32 v2, s10, v1, s6
	s_subb_u32 s9, s9, s7
	s_cmp_lg_u32 s10, 0
	s_subb_u32 s11, s9, 0
	s_delay_alu instid0(VALU_DEP_1)
	v_cmp_le_u32_e32 vcc_lo, s6, v2
	s_cmp_ge_u32 s11, s7
	s_cselect_b32 s12, -1, 0
	s_cmp_eq_u32 s11, s7
	v_cndmask_b32_e64 v3, 0, -1, vcc_lo
	s_cselect_b32 vcc_lo, -1, 0
	s_cmp_lg_u32 s10, 0
	v_sub_co_u32 v4, s10, v2, s6
	s_subb_u32 s9, s9, s7
	s_cmp_lg_u32 s10, 0
	v_cndmask_b32_e32 v3, s12, v3, vcc_lo
	s_subb_u32 s9, s9, 0
	s_cmp_lg_u32 s3, 0
	v_cmp_le_u32_e32 vcc_lo, s6, v1
	s_subb_u32 s8, 0, s8
	s_delay_alu instid0(SALU_CYCLE_1)
	s_cmp_ge_u32 s8, s7
	v_cndmask_b32_e64 v5, 0, -1, vcc_lo
	s_cselect_b32 s6, -1, 0
	s_cmp_eq_u32 s8, s7
	v_cmp_ne_u32_e32 vcc_lo, 0, v3
	v_mov_b32_e32 v3, s9
	s_cselect_b32 s3, -1, 0
	s_delay_alu instid0(SALU_CYCLE_1) | instskip(SKIP_1) | instid1(VALU_DEP_3)
	v_cndmask_b32_e64 v5, s6, v5, s3
	v_cndmask_b32_e32 v2, v2, v4, vcc_lo
	v_cndmask_b32_e32 v3, s11, v3, vcc_lo
	s_mov_b32 s3, s15
	s_delay_alu instid0(VALU_DEP_3) | instskip(NEXT) | instid1(VALU_DEP_3)
	v_cmp_ne_u32_e32 vcc_lo, 0, v5
	v_cndmask_b32_e32 v1, v1, v2, vcc_lo
	s_delay_alu instid0(VALU_DEP_3) | instskip(NEXT) | instid1(VALU_DEP_2)
	v_cndmask_b32_e32 v3, s8, v3, vcc_lo
	v_sub_co_u32 v1, vcc_lo, v1, 0
	s_delay_alu instid0(VALU_DEP_2)
	v_subrev_co_ci_u32_e32 v2, vcc_lo, 0, v3, vcc_lo
	s_and_not1_b32 vcc_lo, exec_lo, s3
	s_cbranch_vccnz .LBB5_3
.LBB5_2:
	v_cvt_f32_u32_e32 v1, s22
	s_mov_b32 s7, 0
	s_sub_i32 s6, 0, s22
	s_delay_alu instid0(VALU_DEP_1) | instskip(SKIP_2) | instid1(VALU_DEP_1)
	v_rcp_iflag_f32_e32 v1, v1
	s_waitcnt_depctr 0xfff
	v_mul_f32_e32 v1, 0x4f7ffffe, v1
	v_cvt_u32_f32_e32 v1, v1
	s_delay_alu instid0(VALU_DEP_1) | instskip(NEXT) | instid1(VALU_DEP_1)
	v_readfirstlane_b32 s3, v1
	s_mul_i32 s6, s6, s3
	s_delay_alu instid0(SALU_CYCLE_1) | instskip(NEXT) | instid1(SALU_CYCLE_1)
	s_mul_hi_u32 s6, s3, s6
	s_add_i32 s3, s3, s6
	s_delay_alu instid0(SALU_CYCLE_1) | instskip(NEXT) | instid1(SALU_CYCLE_1)
	s_mul_hi_u32 s3, s14, s3
	s_mul_i32 s3, s3, s22
	s_delay_alu instid0(SALU_CYCLE_1) | instskip(NEXT) | instid1(SALU_CYCLE_1)
	s_sub_i32 s3, s14, s3
	s_sub_i32 s6, s3, s22
	s_cmp_ge_u32 s3, s22
	s_cselect_b32 s3, s6, s3
	s_delay_alu instid0(SALU_CYCLE_1) | instskip(SKIP_2) | instid1(SALU_CYCLE_1)
	s_sub_i32 s6, s3, s22
	s_cmp_ge_u32 s3, s22
	s_cselect_b32 s6, s6, s3
	v_dual_mov_b32 v1, s6 :: v_dual_mov_b32 v2, s7
.LBB5_3:
	s_load_b64 s[22:23], s[0:1], 0x90
	s_mov_b32 s6, 0
	s_mov_b32 s7, s5
	s_delay_alu instid0(SALU_CYCLE_1)
	s_cmp_lg_u64 s[6:7], 0
	s_cbranch_scc0 .LBB5_11
; %bb.4:
	s_ashr_i32 s8, s5, 31
	s_delay_alu instid0(SALU_CYCLE_1) | instskip(SKIP_2) | instid1(SALU_CYCLE_1)
	s_add_u32 s10, s4, s8
	s_mov_b32 s9, s8
	s_addc_u32 s11, s5, s8
	s_xor_b64 s[8:9], s[10:11], s[8:9]
	s_delay_alu instid0(SALU_CYCLE_1) | instskip(SKIP_3) | instid1(VALU_DEP_1)
	v_cvt_f32_u32_e32 v3, s8
	v_cvt_f32_u32_e32 v4, s9
	s_sub_u32 s7, 0, s8
	s_subb_u32 s10, 0, s9
	v_fmamk_f32 v3, v4, 0x4f800000, v3
	s_delay_alu instid0(VALU_DEP_1) | instskip(SKIP_2) | instid1(VALU_DEP_1)
	v_rcp_f32_e32 v3, v3
	s_waitcnt_depctr 0xfff
	v_mul_f32_e32 v3, 0x5f7ffffc, v3
	v_mul_f32_e32 v4, 0x2f800000, v3
	s_delay_alu instid0(VALU_DEP_1) | instskip(NEXT) | instid1(VALU_DEP_1)
	v_trunc_f32_e32 v4, v4
	v_fmamk_f32 v3, v4, 0xcf800000, v3
	v_cvt_u32_f32_e32 v4, v4
	s_delay_alu instid0(VALU_DEP_2) | instskip(NEXT) | instid1(VALU_DEP_2)
	v_cvt_u32_f32_e32 v3, v3
	v_readfirstlane_b32 s3, v4
	s_delay_alu instid0(VALU_DEP_2) | instskip(NEXT) | instid1(VALU_DEP_2)
	v_readfirstlane_b32 s5, v3
	s_mul_i32 s11, s7, s3
	s_delay_alu instid0(VALU_DEP_1)
	s_mul_hi_u32 s24, s7, s5
	s_mul_i32 s12, s10, s5
	s_add_i32 s11, s24, s11
	s_mul_i32 s25, s7, s5
	s_add_i32 s11, s11, s12
	s_mul_hi_u32 s24, s5, s25
	s_mul_hi_u32 s26, s3, s25
	s_mul_i32 s12, s3, s25
	s_mul_hi_u32 s25, s5, s11
	s_mul_i32 s5, s5, s11
	s_mul_hi_u32 s27, s3, s11
	s_add_u32 s5, s24, s5
	s_addc_u32 s24, 0, s25
	s_add_u32 s5, s5, s12
	s_mul_i32 s11, s3, s11
	s_addc_u32 s5, s24, s26
	s_addc_u32 s12, s27, 0
	s_add_u32 s5, s5, s11
	s_addc_u32 s11, 0, s12
	v_add_co_u32 v3, s5, v3, s5
	s_delay_alu instid0(VALU_DEP_1) | instskip(SKIP_1) | instid1(VALU_DEP_1)
	s_cmp_lg_u32 s5, 0
	s_addc_u32 s3, s3, s11
	v_readfirstlane_b32 s5, v3
	s_mul_i32 s11, s7, s3
	s_delay_alu instid0(VALU_DEP_1)
	s_mul_hi_u32 s12, s7, s5
	s_mul_i32 s10, s10, s5
	s_add_i32 s11, s12, s11
	s_mul_i32 s7, s7, s5
	s_add_i32 s11, s11, s10
	s_mul_hi_u32 s12, s3, s7
	s_mul_i32 s24, s3, s7
	s_mul_hi_u32 s7, s5, s7
	s_mul_hi_u32 s25, s5, s11
	s_mul_i32 s5, s5, s11
	s_mul_hi_u32 s10, s3, s11
	s_add_u32 s5, s7, s5
	s_addc_u32 s7, 0, s25
	s_add_u32 s5, s5, s24
	s_mul_i32 s11, s3, s11
	s_addc_u32 s5, s7, s12
	s_addc_u32 s7, s10, 0
	s_add_u32 s5, s5, s11
	s_addc_u32 s7, 0, s7
	v_add_co_u32 v3, s5, v3, s5
	s_delay_alu instid0(VALU_DEP_1) | instskip(SKIP_1) | instid1(VALU_DEP_1)
	s_cmp_lg_u32 s5, 0
	s_addc_u32 s3, s3, s7
	v_readfirstlane_b32 s5, v3
	s_mul_i32 s7, s2, s3
	s_mul_hi_u32 s3, s2, s3
	s_delay_alu instid0(VALU_DEP_1) | instskip(NEXT) | instid1(SALU_CYCLE_1)
	s_mul_hi_u32 s5, s2, s5
	s_add_u32 s5, s5, s7
	s_addc_u32 s3, 0, s3
	s_add_u32 s5, s5, 0
	s_addc_u32 s3, s3, 0
	s_addc_u32 s5, 0, 0
	s_add_u32 s3, s3, 0
	s_addc_u32 s5, 0, s5
	s_mul_hi_u32 s7, s8, s3
	s_mul_i32 s5, s8, s5
	s_mul_i32 s10, s9, s3
	;; [unrolled: 1-line block ×3, first 2 shown]
	s_add_i32 s5, s7, s5
	v_sub_co_u32 v3, s3, s2, s3
	s_add_i32 s5, s5, s10
	s_delay_alu instid0(SALU_CYCLE_1) | instskip(SKIP_1) | instid1(VALU_DEP_1)
	s_sub_i32 s7, 0, s5
	s_cmp_lg_u32 s3, 0
	v_sub_co_u32 v4, s10, v3, s8
	s_subb_u32 s7, s7, s9
	s_cmp_lg_u32 s10, 0
	s_subb_u32 s11, s7, 0
	s_delay_alu instid0(VALU_DEP_1)
	v_cmp_le_u32_e32 vcc_lo, s8, v4
	s_cmp_ge_u32 s11, s9
	s_cselect_b32 s12, -1, 0
	s_cmp_eq_u32 s11, s9
	v_cndmask_b32_e64 v5, 0, -1, vcc_lo
	s_cselect_b32 vcc_lo, -1, 0
	s_cmp_lg_u32 s10, 0
	v_sub_co_u32 v6, s10, v4, s8
	s_subb_u32 s7, s7, s9
	s_cmp_lg_u32 s10, 0
	v_cndmask_b32_e32 v5, s12, v5, vcc_lo
	s_subb_u32 s7, s7, 0
	s_cmp_lg_u32 s3, 0
	v_cmp_le_u32_e32 vcc_lo, s8, v3
	s_subb_u32 s5, 0, s5
	s_delay_alu instid0(SALU_CYCLE_1)
	s_cmp_ge_u32 s5, s9
	v_cndmask_b32_e64 v7, 0, -1, vcc_lo
	s_cselect_b32 s8, -1, 0
	s_cmp_eq_u32 s5, s9
	v_cmp_ne_u32_e32 vcc_lo, 0, v5
	v_mov_b32_e32 v5, s7
	s_cselect_b32 s3, -1, 0
	s_delay_alu instid0(SALU_CYCLE_1) | instskip(SKIP_1) | instid1(VALU_DEP_3)
	v_cndmask_b32_e64 v7, s8, v7, s3
	v_cndmask_b32_e32 v4, v4, v6, vcc_lo
	v_cndmask_b32_e32 v5, s11, v5, vcc_lo
	s_delay_alu instid0(VALU_DEP_3) | instskip(NEXT) | instid1(VALU_DEP_3)
	v_cmp_ne_u32_e32 vcc_lo, 0, v7
	v_cndmask_b32_e32 v3, v3, v4, vcc_lo
	s_delay_alu instid0(VALU_DEP_3) | instskip(NEXT) | instid1(VALU_DEP_2)
	v_cndmask_b32_e32 v5, s5, v5, vcc_lo
	v_sub_co_u32 v3, vcc_lo, v3, 0
	s_delay_alu instid0(VALU_DEP_2)
	v_subrev_co_ci_u32_e32 v4, vcc_lo, 0, v5, vcc_lo
	s_and_not1_b32 vcc_lo, exec_lo, s6
	s_cbranch_vccnz .LBB5_6
.LBB5_5:
	v_cvt_f32_u32_e32 v3, s4
	s_sub_i32 s5, 0, s4
	s_delay_alu instid0(VALU_DEP_1) | instskip(SKIP_2) | instid1(VALU_DEP_1)
	v_rcp_iflag_f32_e32 v3, v3
	s_waitcnt_depctr 0xfff
	v_mul_f32_e32 v3, 0x4f7ffffe, v3
	v_cvt_u32_f32_e32 v3, v3
	s_delay_alu instid0(VALU_DEP_1) | instskip(NEXT) | instid1(VALU_DEP_1)
	v_readfirstlane_b32 s3, v3
	s_mul_i32 s5, s5, s3
	s_delay_alu instid0(SALU_CYCLE_1) | instskip(NEXT) | instid1(SALU_CYCLE_1)
	s_mul_hi_u32 s5, s3, s5
	s_add_i32 s3, s3, s5
	s_delay_alu instid0(SALU_CYCLE_1) | instskip(NEXT) | instid1(SALU_CYCLE_1)
	s_mul_hi_u32 s3, s2, s3
	s_mul_i32 s3, s3, s4
	s_delay_alu instid0(SALU_CYCLE_1) | instskip(NEXT) | instid1(SALU_CYCLE_1)
	s_sub_i32 s3, s2, s3
	s_sub_i32 s5, s3, s4
	s_cmp_ge_u32 s3, s4
	s_cselect_b32 s3, s5, s3
	s_mov_b32 s5, 0
	s_sub_i32 s6, s3, s4
	s_cmp_ge_u32 s3, s4
	s_cselect_b32 s4, s6, s3
	s_delay_alu instid0(SALU_CYCLE_1)
	v_dual_mov_b32 v3, s4 :: v_dual_mov_b32 v4, s5
.LBB5_6:
	s_load_b64 s[24:25], s[0:1], 0xa0
	s_waitcnt lgkmcnt(0)
	v_cmp_le_f32_e64 s3, s23, 0
	v_mov_b32_e32 v6, 1.0
	s_delay_alu instid0(VALU_DEP_2)
	s_and_b32 vcc_lo, exec_lo, s3
	s_cbranch_vccnz .LBB5_8
; %bb.7:
	s_clause 0x1
	s_load_b32 s3, s[0:1], 0x28
	s_load_b64 s[4:5], s[0:1], 0x98
	s_add_i32 s7, s14, 1
	s_waitcnt lgkmcnt(0)
	s_sub_i32 s6, s14, s3
	v_mov_b32_e32 v5, s4
	s_lshl_b32 s6, s6, 1
	s_delay_alu instid0(SALU_CYCLE_1)
	s_or_b32 s4, s6, 1
	s_cmp_lt_u32 s14, s3
	s_cselect_b32 vcc_lo, -1, 0
	v_cndmask_b32_e32 v7, s5, v5, vcc_lo
	s_and_b32 s3, vcc_lo, exec_lo
	s_cselect_b32 s3, s7, s4
	s_mov_b32 s4, 0x3e76c4e1
	v_cvt_f32_i32_e32 v5, s3
	v_cmp_neq_f32_e32 vcc_lo, 1.0, v7
	s_delay_alu instid0(VALU_DEP_2) | instskip(NEXT) | instid1(VALU_DEP_1)
	v_cndmask_b32_e32 v8, 1.0, v5, vcc_lo
	v_cmp_eq_f32_e32 vcc_lo, 0, v8
	v_cndmask_b32_e64 v9, |v7|, 1.0, vcc_lo
	s_delay_alu instid0(VALU_DEP_1) | instskip(NEXT) | instid1(VALU_DEP_1)
	v_frexp_mant_f32_e32 v5, v9
	v_cmp_gt_f32_e64 s3, 0x3f2aaaab, v5
	s_delay_alu instid0(VALU_DEP_1) | instskip(NEXT) | instid1(VALU_DEP_1)
	v_cndmask_b32_e64 v6, 1.0, 2.0, s3
	v_mul_f32_e32 v5, v5, v6
	s_delay_alu instid0(VALU_DEP_1) | instskip(SKIP_1) | instid1(VALU_DEP_2)
	v_add_f32_e32 v6, 1.0, v5
	v_add_f32_e32 v11, -1.0, v5
	v_rcp_f32_e32 v10, v6
	s_waitcnt_depctr 0xfff
	v_mul_f32_e32 v12, v11, v10
	s_delay_alu instid0(VALU_DEP_1) | instskip(NEXT) | instid1(VALU_DEP_1)
	v_dual_add_f32 v13, -1.0, v6 :: v_dual_mul_f32 v14, v6, v12
	v_sub_f32_e32 v5, v5, v13
	v_cndmask_b32_e64 v7, v7, 1.0, vcc_lo
	s_delay_alu instid0(VALU_DEP_3) | instskip(NEXT) | instid1(VALU_DEP_2)
	v_fma_f32 v6, v12, v6, -v14
	v_cmp_eq_f32_e64 s5, 0, v7
	s_delay_alu instid0(VALU_DEP_2) | instskip(NEXT) | instid1(VALU_DEP_1)
	v_fmac_f32_e32 v6, v12, v5
	v_add_f32_e32 v5, v14, v6
	s_delay_alu instid0(VALU_DEP_1) | instskip(NEXT) | instid1(VALU_DEP_1)
	v_dual_sub_f32 v14, v5, v14 :: v_dual_sub_f32 v13, v11, v5
	v_dual_sub_f32 v6, v14, v6 :: v_dual_sub_f32 v11, v11, v13
	s_delay_alu instid0(VALU_DEP_1) | instskip(NEXT) | instid1(VALU_DEP_1)
	v_sub_f32_e32 v5, v11, v5
	v_add_f32_e32 v5, v6, v5
	s_delay_alu instid0(VALU_DEP_1) | instskip(NEXT) | instid1(VALU_DEP_1)
	v_add_f32_e32 v5, v13, v5
	v_mul_f32_e32 v5, v10, v5
	s_delay_alu instid0(VALU_DEP_1) | instskip(NEXT) | instid1(VALU_DEP_1)
	v_add_f32_e32 v10, v12, v5
	v_sub_f32_e32 v6, v10, v12
	v_mul_f32_e32 v11, v10, v10
	s_delay_alu instid0(VALU_DEP_2) | instskip(NEXT) | instid1(VALU_DEP_2)
	v_sub_f32_e32 v12, v5, v6
	v_fma_f32 v13, v10, v10, -v11
	s_delay_alu instid0(VALU_DEP_2) | instskip(NEXT) | instid1(VALU_DEP_1)
	v_add_f32_e32 v5, v12, v12
	v_fmac_f32_e32 v13, v10, v5
	v_cvt_f64_f32_e32 v[5:6], v9
	s_delay_alu instid0(VALU_DEP_2) | instskip(NEXT) | instid1(VALU_DEP_1)
	v_add_f32_e32 v14, v11, v13
	v_fmaak_f32 v15, s4, v14, 0x3e91f4c4
	v_sub_f32_e32 v11, v14, v11
	v_mul_f32_e32 v18, v10, v14
	s_delay_alu instid0(VALU_DEP_3) | instskip(NEXT) | instid1(VALU_DEP_3)
	v_fmaak_f32 v15, v14, v15, 0x3ecccdef
	v_sub_f32_e32 v11, v13, v11
	s_delay_alu instid0(VALU_DEP_2) | instskip(NEXT) | instid1(VALU_DEP_1)
	v_mul_f32_e32 v16, v14, v15
	v_fma_f32 v13, v14, v15, -v16
	s_delay_alu instid0(VALU_DEP_1) | instskip(NEXT) | instid1(VALU_DEP_1)
	v_fmac_f32_e32 v13, v11, v15
	v_add_f32_e32 v15, v16, v13
	v_frexp_exp_i32_f64_e32 v5, v[5:6]
	s_delay_alu instid0(VALU_DEP_2) | instskip(NEXT) | instid1(VALU_DEP_1)
	v_sub_f32_e32 v16, v15, v16
	v_sub_f32_e32 v6, v13, v16
	v_fma_f32 v16, v14, v10, -v18
	s_delay_alu instid0(VALU_DEP_2) | instskip(NEXT) | instid1(VALU_DEP_2)
	v_add_f32_e32 v6, 0x31739010, v6
	v_dual_add_f32 v17, 0x3f2aaaaa, v15 :: v_dual_fmac_f32 v16, v14, v12
	v_ldexp_f32 v12, v12, 1
	s_delay_alu instid0(VALU_DEP_2) | instskip(NEXT) | instid1(VALU_DEP_1)
	v_dual_add_f32 v13, 0xbf2aaaaa, v17 :: v_dual_fmac_f32 v16, v11, v10
	v_sub_f32_e32 v13, v15, v13
	s_delay_alu instid0(VALU_DEP_1) | instskip(NEXT) | instid1(VALU_DEP_3)
	v_add_f32_e32 v6, v6, v13
	v_add_f32_e32 v13, v18, v16
	s_delay_alu instid0(VALU_DEP_2) | instskip(NEXT) | instid1(VALU_DEP_1)
	v_add_f32_e32 v11, v17, v6
	v_sub_f32_e32 v14, v17, v11
	s_delay_alu instid0(VALU_DEP_3) | instskip(SKIP_2) | instid1(VALU_DEP_4)
	v_mul_f32_e32 v15, v13, v11
	v_sub_f32_e32 v17, v13, v18
	v_subrev_co_ci_u32_e64 v5, s3, 0, v5, s3
	v_add_f32_e32 v6, v6, v14
	s_delay_alu instid0(VALU_DEP_4) | instskip(NEXT) | instid1(VALU_DEP_4)
	v_fma_f32 v14, v13, v11, -v15
	v_sub_f32_e32 v16, v16, v17
	s_delay_alu instid0(VALU_DEP_4) | instskip(NEXT) | instid1(VALU_DEP_3)
	v_cvt_f32_i32_e32 v5, v5
	v_fmac_f32_e32 v14, v13, v6
	v_ldexp_f32 v6, v10, 1
	s_delay_alu instid0(VALU_DEP_2) | instskip(NEXT) | instid1(VALU_DEP_1)
	v_fmac_f32_e32 v14, v16, v11
	v_add_f32_e32 v10, v15, v14
	s_delay_alu instid0(VALU_DEP_1) | instskip(NEXT) | instid1(VALU_DEP_1)
	v_add_f32_e32 v11, v6, v10
	v_dual_sub_f32 v6, v11, v6 :: v_dual_sub_f32 v13, v10, v15
	s_delay_alu instid0(VALU_DEP_1) | instskip(NEXT) | instid1(VALU_DEP_2)
	v_sub_f32_e32 v6, v10, v6
	v_sub_f32_e32 v13, v14, v13
	s_delay_alu instid0(VALU_DEP_1) | instskip(NEXT) | instid1(VALU_DEP_1)
	v_add_f32_e32 v10, v12, v13
	v_dual_mul_f32 v15, 0x3f317218, v5 :: v_dual_add_f32 v6, v10, v6
	s_delay_alu instid0(VALU_DEP_1) | instskip(NEXT) | instid1(VALU_DEP_2)
	v_fma_f32 v14, 0x3f317218, v5, -v15
	v_add_f32_e32 v12, v11, v6
	s_delay_alu instid0(VALU_DEP_1) | instskip(NEXT) | instid1(VALU_DEP_1)
	v_sub_f32_e32 v11, v12, v11
	v_dual_fmamk_f32 v5, v5, 0xb102e308, v14 :: v_dual_sub_f32 v6, v6, v11
	s_delay_alu instid0(VALU_DEP_1) | instskip(NEXT) | instid1(VALU_DEP_1)
	v_add_f32_e32 v10, v15, v5
	v_add_f32_e32 v13, v10, v12
	s_delay_alu instid0(VALU_DEP_1) | instskip(NEXT) | instid1(VALU_DEP_1)
	v_dual_sub_f32 v15, v10, v15 :: v_dual_sub_f32 v14, v13, v10
	v_sub_f32_e32 v16, v13, v14
	s_delay_alu instid0(VALU_DEP_2) | instskip(NEXT) | instid1(VALU_DEP_2)
	v_sub_f32_e32 v5, v5, v15
	v_dual_sub_f32 v11, v12, v14 :: v_dual_sub_f32 v10, v10, v16
	s_delay_alu instid0(VALU_DEP_2) | instskip(NEXT) | instid1(VALU_DEP_2)
	v_add_f32_e32 v12, v5, v6
	v_add_f32_e32 v10, v11, v10
	s_delay_alu instid0(VALU_DEP_1) | instskip(NEXT) | instid1(VALU_DEP_1)
	v_add_f32_e32 v10, v12, v10
	v_dual_sub_f32 v11, v12, v5 :: v_dual_add_f32 v14, v13, v10
	s_delay_alu instid0(VALU_DEP_1) | instskip(SKIP_1) | instid1(VALU_DEP_3)
	v_sub_f32_e32 v12, v12, v11
	v_sub_f32_e32 v6, v6, v11
	;; [unrolled: 1-line block ×3, first 2 shown]
	s_delay_alu instid0(VALU_DEP_3) | instskip(NEXT) | instid1(VALU_DEP_1)
	v_sub_f32_e32 v5, v5, v12
	v_add_f32_e32 v5, v6, v5
	s_delay_alu instid0(VALU_DEP_3) | instskip(NEXT) | instid1(VALU_DEP_1)
	v_sub_f32_e32 v6, v10, v11
	v_add_f32_e32 v5, v5, v6
	s_delay_alu instid0(VALU_DEP_1) | instskip(NEXT) | instid1(VALU_DEP_1)
	v_add_f32_e32 v6, v14, v5
	v_mul_f32_e32 v11, v8, v6
	v_sub_f32_e32 v10, v6, v14
	s_delay_alu instid0(VALU_DEP_2) | instskip(NEXT) | instid1(VALU_DEP_2)
	v_fma_f32 v6, v8, v6, -v11
	v_sub_f32_e32 v5, v5, v10
	v_cmp_class_f32_e64 s3, v11, 0x204
	s_delay_alu instid0(VALU_DEP_2) | instskip(NEXT) | instid1(VALU_DEP_1)
	v_fmac_f32_e32 v6, v8, v5
	v_add_f32_e32 v5, v11, v6
	s_delay_alu instid0(VALU_DEP_1) | instskip(NEXT) | instid1(VALU_DEP_1)
	v_cndmask_b32_e64 v10, v5, v11, s3
	v_cmp_eq_f32_e64 s3, 0x42b17218, v10
	s_delay_alu instid0(VALU_DEP_1) | instskip(SKIP_1) | instid1(VALU_DEP_2)
	v_cndmask_b32_e64 v12, 0, 0x37000000, s3
	v_cmp_neq_f32_e64 s3, 0x7f800000, |v10|
	v_sub_f32_e32 v13, v10, v12
	v_trunc_f32_e32 v10, v8
	s_delay_alu instid0(VALU_DEP_2) | instskip(NEXT) | instid1(VALU_DEP_1)
	v_mul_f32_e32 v14, 0x3fb8aa3b, v13
	v_fma_f32 v15, 0x3fb8aa3b, v13, -v14
	v_rndne_f32_e32 v16, v14
	s_delay_alu instid0(VALU_DEP_1) | instskip(NEXT) | instid1(VALU_DEP_1)
	v_dual_fmamk_f32 v15, v13, 0x32a5705f, v15 :: v_dual_sub_f32 v14, v14, v16
	v_add_f32_e32 v14, v14, v15
	v_sub_f32_e32 v5, v5, v11
	v_cvt_i32_f32_e32 v11, v16
	s_delay_alu instid0(VALU_DEP_3) | instskip(NEXT) | instid1(VALU_DEP_2)
	v_exp_f32_e32 v14, v14
	v_sub_f32_e32 v5, v6, v5
	s_delay_alu instid0(VALU_DEP_1)
	v_cndmask_b32_e64 v5, 0, v5, s3
	v_cmp_ngt_f32_e64 s3, 0xc2ce8ed0, v13
	s_waitcnt_depctr 0xfff
	v_ldexp_f32 v6, v14, v11
	v_mul_f32_e32 v11, 0.5, v8
	v_add_f32_e32 v5, v12, v5
	s_delay_alu instid0(VALU_DEP_3) | instskip(NEXT) | instid1(VALU_DEP_3)
	v_cndmask_b32_e64 v6, 0, v6, s3
	v_trunc_f32_e32 v14, v11
	v_cmp_nlt_f32_e64 s3, 0x42b17218, v13
	s_delay_alu instid0(VALU_DEP_2) | instskip(NEXT) | instid1(VALU_DEP_2)
	v_cmp_neq_f32_e64 s4, v14, v11
	v_cndmask_b32_e64 v6, 0x7f800000, v6, s3
	v_cmp_eq_f32_e64 s3, v10, v8
	s_delay_alu instid0(VALU_DEP_2) | instskip(NEXT) | instid1(VALU_DEP_2)
	v_fma_f32 v5, v6, v5, v6
	s_and_b32 vcc_lo, s3, s4
	v_cmp_class_f32_e64 s4, v6, 0x204
	v_cndmask_b32_e32 v10, 1.0, v7, vcc_lo
	s_delay_alu instid0(VALU_DEP_2) | instskip(SKIP_1) | instid1(VALU_DEP_2)
	v_cndmask_b32_e64 v5, v5, v6, s4
	v_cmp_gt_f32_e64 s4, 0, v8
	v_bfi_b32 v5, 0x7fffffff, v5, v10
	s_delay_alu instid0(VALU_DEP_2)
	s_xor_b32 s4, s4, s5
	v_cndmask_b32_e32 v10, 0, v7, vcc_lo
	v_cndmask_b32_e64 v6, 0x7f800000, 0, s4
	v_cmp_eq_f32_e32 vcc_lo, 0x7f800000, v9
	v_cndmask_b32_e64 v8, 0x7fc00000, v5, s3
	v_cmp_gt_f32_e64 s3, 0, v7
	s_delay_alu instid0(VALU_DEP_4) | instskip(SKIP_1) | instid1(VALU_DEP_2)
	v_bfi_b32 v6, 0x7fffffff, v6, v10
	s_or_b32 vcc_lo, vcc_lo, s5
	v_cndmask_b32_e64 v5, v5, v8, s3
	s_delay_alu instid0(VALU_DEP_1) | instskip(SKIP_1) | instid1(VALU_DEP_2)
	v_cndmask_b32_e32 v5, v5, v6, vcc_lo
	v_cmp_o_f32_e32 vcc_lo, v7, v7
	v_cndmask_b32_e32 v6, 0x7fc00000, v5, vcc_lo
.LBB5_8:
	s_load_b256 s[4:11], s[0:1], 0x0
	s_waitcnt lgkmcnt(0)
	s_cmp_lg_u64 s[8:9], 0
	s_cselect_b32 s1, -1, 0
	s_cmp_eq_u64 s[8:9], 0
	s_cbranch_scc1 .LBB5_12
; %bb.9:
	s_lshl_b64 s[26:27], s[14:15], 2
	s_delay_alu instid0(SALU_CYCLE_1)
	s_add_u32 s26, s8, s26
	s_addc_u32 s27, s9, s27
	s_load_b32 s12, s[26:27], 0x0
	s_branch .LBB5_13
.LBB5_10:
                                        ; implicit-def: $vgpr1_vgpr2
	s_branch .LBB5_2
.LBB5_11:
                                        ; implicit-def: $vgpr3_vgpr4
	s_branch .LBB5_5
.LBB5_12:
	s_mov_b32 s12, 0xff800000
.LBB5_13:
	s_mul_i32 s0, s25, s2
	v_mul_lo_u32 v8, v1, s19
	s_add_i32 s0, s0, s14
	v_mul_hi_u32 v9, v1, s18
	s_mul_i32 s0, s0, s24
	v_mul_lo_u32 v2, v2, s18
	s_add_i32 s2, s0, s13
	v_mul_lo_u32 v10, v3, s21
	v_mul_hi_u32 v11, v3, s20
	s_ashr_i32 s3, s2, 31
	v_lshlrev_b32_e32 v5, 2, v0
	s_lshl_b64 s[24:25], s[2:3], 13
	v_add_nc_u32_e32 v8, v9, v8
	s_add_u32 s4, s4, s24
	s_addc_u32 s5, s5, s25
	v_mul_lo_u32 v1, v1, s18
	v_mul_lo_u32 v4, v4, s20
	v_add_nc_u32_e32 v2, v8, v2
	v_add_nc_u32_e32 v8, v11, v10
	v_mov_b32_e32 v10, 0
	global_load_b32 v7, v5, s[4:5]
	s_mul_i32 s0, s17, s13
	s_mul_hi_u32 s17, s16, s13
	v_mul_lo_u32 v3, v3, s20
	s_add_i32 s17, s17, s0
	s_mul_i32 s0, s16, s13
	v_add_nc_u32_e32 v4, v8, v4
	v_add_co_u32 v1, vcc_lo, v1, s0
	v_add_co_ci_u32_e32 v2, vcc_lo, s17, v2, vcc_lo
	s_cmp_lg_u64 s[6:7], 0
	s_delay_alu instid0(VALU_DEP_2) | instskip(SKIP_1) | instid1(VALU_DEP_3)
	v_add_co_u32 v1, vcc_lo, v1, v3
	v_mov_b32_e32 v3, 0
	v_add_co_ci_u32_e32 v2, vcc_lo, v2, v4, vcc_lo
	s_cselect_b32 s0, -1, 0
	v_lshlrev_b32_e32 v9, 1, v0
	s_delay_alu instid0(VALU_DEP_2) | instskip(NEXT) | instid1(VALU_DEP_1)
	v_lshrrev_b64 v[1:2], 1, v[1:2]
	v_cndmask_b32_e64 v2, 0, v2, s0
	s_delay_alu instid0(VALU_DEP_2) | instskip(NEXT) | instid1(VALU_DEP_1)
	v_cndmask_b32_e64 v1, 0, v1, s0
	v_lshlrev_b64 v[1:2], 1, v[1:2]
	s_delay_alu instid0(VALU_DEP_1) | instskip(NEXT) | instid1(VALU_DEP_2)
	v_add_co_u32 v4, vcc_lo, s6, v1
	v_add_co_ci_u32_e32 v8, vcc_lo, s7, v2, vcc_lo
	s_and_b32 vcc_lo, exec_lo, s0
	s_cbranch_vccz .LBB5_15
; %bb.14:
	s_delay_alu instid0(VALU_DEP_2) | instskip(NEXT) | instid1(VALU_DEP_2)
	v_readfirstlane_b32 s6, v4
	v_readfirstlane_b32 s7, v8
	global_load_u16 v1, v9, s[6:7]
	s_waitcnt vmcnt(0)
	v_cvt_f32_f16_e32 v1, v1
	s_delay_alu instid0(VALU_DEP_1)
	v_mul_f32_e32 v3, v6, v1
.LBB5_15:
	v_or_b32_e32 v1, 0x400, v0
	s_waitcnt vmcnt(0)
	s_delay_alu instid0(VALU_DEP_2)
	v_fmac_f32_e32 v3, s22, v7
	v_lshl_add_u32 v2, v0, 2, 0
	s_and_not1_b32 vcc_lo, exec_lo, s0
	v_lshlrev_b32_e32 v1, 2, v1
	ds_store_b32 v2, v3 offset:128
	global_load_b32 v11, v1, s[4:5]
	s_cbranch_vccnz .LBB5_17
; %bb.16:
	v_readfirstlane_b32 s4, v4
	v_readfirstlane_b32 s5, v8
	global_load_u16 v4, v9, s[4:5] offset:2048
	s_waitcnt vmcnt(0)
	v_cvt_f32_f16_e32 v4, v4
	s_delay_alu instid0(VALU_DEP_1)
	v_mul_f32_e32 v10, v6, v4
.LBB5_17:
	v_mbcnt_lo_u32_b32 v9, -1, 0
	s_waitcnt vmcnt(0)
	s_delay_alu instid0(VALU_DEP_2) | instskip(NEXT) | instid1(VALU_DEP_2)
	v_fmac_f32_e32 v10, s22, v11
	v_xor_b32_e32 v4, 16, v9
	v_xor_b32_e32 v7, 8, v9
	s_waitcnt lgkmcnt(0)
	s_delay_alu instid0(VALU_DEP_3) | instskip(NEXT) | instid1(VALU_DEP_3)
	v_max3_f32 v3, s12, v3, v10
	v_cmp_gt_i32_e32 vcc_lo, 32, v4
	v_cndmask_b32_e32 v4, v9, v4, vcc_lo
	v_cmp_gt_i32_e32 vcc_lo, 32, v7
	s_delay_alu instid0(VALU_DEP_2) | instskip(SKIP_3) | instid1(VALU_DEP_1)
	v_dual_cndmask_b32 v7, v9, v7 :: v_dual_lshlrev_b32 v4, 2, v4
	ds_bpermute_b32 v6, v4, v3
	s_waitcnt lgkmcnt(0)
	v_max_f32_e32 v8, v6, v6
	v_dual_max_f32 v3, v3, v8 :: v_dual_lshlrev_b32 v6, 2, v7
	v_xor_b32_e32 v8, 4, v9
	ds_bpermute_b32 v7, v6, v3
	v_cmp_gt_i32_e32 vcc_lo, 32, v8
	s_waitcnt lgkmcnt(0)
	v_dual_cndmask_b32 v8, v9, v8 :: v_dual_max_f32 v11, v7, v7
	s_delay_alu instid0(VALU_DEP_1) | instskip(NEXT) | instid1(VALU_DEP_2)
	v_lshlrev_b32_e32 v7, 2, v8
	v_max_f32_e32 v3, v3, v11
	v_xor_b32_e32 v11, 2, v9
	ds_bpermute_b32 v8, v7, v3
	v_cmp_gt_i32_e32 vcc_lo, 32, v11
	s_waitcnt lgkmcnt(0)
	v_dual_cndmask_b32 v11, v9, v11 :: v_dual_max_f32 v12, v8, v8
	s_delay_alu instid0(VALU_DEP_1) | instskip(SKIP_1) | instid1(VALU_DEP_1)
	v_max_f32_e32 v3, v3, v12
	v_xor_b32_e32 v12, 1, v9
	v_cmp_gt_i32_e32 vcc_lo, 32, v12
	s_delay_alu instid0(VALU_DEP_4) | instskip(SKIP_4) | instid1(VALU_DEP_1)
	v_dual_cndmask_b32 v9, v9, v12 :: v_dual_lshlrev_b32 v8, 2, v11
	ds_bpermute_b32 v11, v8, v3
	v_lshlrev_b32_e32 v9, 2, v9
	s_waitcnt lgkmcnt(0)
	v_max_f32_e32 v11, v11, v11
	v_dual_max_f32 v12, v3, v11 :: v_dual_and_b32 v11, 31, v0
	v_add3_u32 v3, 0, 0x80, v5
	v_lshrrev_b32_e32 v0, 3, v0
	ds_bpermute_b32 v13, v9, v12
	v_cmp_eq_u32_e32 vcc_lo, 0, v11
	ds_store_b32 v3, v10 offset:4096
	s_and_saveexec_b32 s0, vcc_lo
	s_delay_alu instid0(SALU_CYCLE_1)
	s_xor_b32 s0, exec_lo, s0
	s_cbranch_execz .LBB5_19
; %bb.18:
	s_waitcnt lgkmcnt(1)
	v_max_f32_e32 v10, v13, v13
	v_max_f32_e32 v12, v12, v12
	s_delay_alu instid0(VALU_DEP_1)
	v_max_f32_e32 v10, v12, v10
	v_add_nc_u32_e32 v12, 0, v0
	ds_store_b32 v12, v10
.LBB5_19:
	s_or_b32 exec_lo, exec_lo, s0
	v_lshl_add_u32 v10, v11, 2, 0
	s_waitcnt lgkmcnt(0)
	s_barrier
	buffer_gl0_inv
	ds_load_b32 v11, v10
	ds_load_b32 v12, v2 offset:128
	ds_load_b32 v13, v3 offset:4096
	s_waitcnt lgkmcnt(2)
	ds_bpermute_b32 v14, v4, v11
	s_waitcnt lgkmcnt(0)
	v_dual_max_f32 v11, v11, v11 :: v_dual_max_f32 v14, v14, v14
	s_delay_alu instid0(VALU_DEP_1) | instskip(SKIP_3) | instid1(VALU_DEP_1)
	v_max_f32_e32 v11, v11, v14
	ds_bpermute_b32 v14, v6, v11
	s_waitcnt lgkmcnt(0)
	v_max_f32_e32 v14, v14, v14
	v_max_f32_e32 v11, v11, v14
	ds_bpermute_b32 v14, v7, v11
	s_waitcnt lgkmcnt(0)
	v_max_f32_e32 v14, v14, v14
	s_delay_alu instid0(VALU_DEP_1) | instskip(SKIP_3) | instid1(VALU_DEP_1)
	v_max_f32_e32 v11, v11, v14
	ds_bpermute_b32 v14, v8, v11
	s_waitcnt lgkmcnt(0)
	v_max_f32_e32 v14, v14, v14
	v_max_f32_e32 v11, v11, v14
	ds_bpermute_b32 v14, v9, v11
	s_waitcnt lgkmcnt(0)
	v_max_f32_e32 v14, v14, v14
	s_delay_alu instid0(VALU_DEP_1) | instskip(NEXT) | instid1(VALU_DEP_1)
	v_max_f32_e32 v11, v11, v14
	v_sub_f32_e32 v12, v12, v11
	s_delay_alu instid0(VALU_DEP_1) | instskip(NEXT) | instid1(VALU_DEP_1)
	v_mul_f32_e32 v14, 0x3fb8aa3b, v12
	v_fma_f32 v16, 0x3fb8aa3b, v12, -v14
	v_rndne_f32_e32 v17, v14
	s_delay_alu instid0(VALU_DEP_2) | instskip(NEXT) | instid1(VALU_DEP_2)
	v_fmac_f32_e32 v16, 0x32a5705f, v12
	v_sub_f32_e32 v14, v14, v17
	s_delay_alu instid0(VALU_DEP_1) | instskip(SKIP_1) | instid1(VALU_DEP_2)
	v_dual_add_f32 v14, v14, v16 :: v_dual_sub_f32 v13, v13, v11
	v_cvt_i32_f32_e32 v16, v17
	v_exp_f32_e32 v14, v14
	s_delay_alu instid0(VALU_DEP_2) | instskip(NEXT) | instid1(VALU_DEP_1)
	v_mul_f32_e32 v15, 0x3fb8aa3b, v13
	v_fma_f32 v18, 0x3fb8aa3b, v13, -v15
	v_rndne_f32_e32 v19, v15
	s_waitcnt_depctr 0xfff
	v_ldexp_f32 v14, v14, v16
	v_dual_fmac_f32 v18, 0x32a5705f, v13 :: v_dual_sub_f32 v15, v15, v19
	v_cvt_i32_f32_e32 v17, v19
	s_delay_alu instid0(VALU_DEP_2) | instskip(SKIP_1) | instid1(VALU_DEP_2)
	v_add_f32_e32 v15, v15, v18
	v_cmp_ngt_f32_e64 s0, 0xc2ce8ed0, v12
	v_exp_f32_e32 v15, v15
	s_delay_alu instid0(VALU_DEP_1) | instskip(SKIP_3) | instid1(VALU_DEP_1)
	v_cndmask_b32_e64 v14, 0, v14, s0
	v_cmp_ngt_f32_e64 s0, 0xc2ce8ed0, v13
	s_waitcnt_depctr 0xfff
	v_ldexp_f32 v15, v15, v17
	v_cndmask_b32_e64 v15, 0, v15, s0
	v_cmp_nlt_f32_e64 s0, 0x42b17218, v12
	s_delay_alu instid0(VALU_DEP_1) | instskip(SKIP_1) | instid1(VALU_DEP_1)
	v_cndmask_b32_e64 v14, 0x7f800000, v14, s0
	v_cmp_nlt_f32_e64 s0, 0x42b17218, v13
	v_cndmask_b32_e64 v15, 0x7f800000, v15, s0
	ds_store_b32 v2, v14 offset:128
	ds_store_b32 v3, v15 offset:4096
	v_add_f32_e32 v12, v14, v15
	ds_bpermute_b32 v13, v4, v12
	s_waitcnt lgkmcnt(0)
	v_add_f32_e32 v12, v12, v13
	ds_bpermute_b32 v13, v6, v12
	s_waitcnt lgkmcnt(0)
	;; [unrolled: 3-line block ×4, first 2 shown]
	v_add_f32_e32 v12, v12, v13
	ds_bpermute_b32 v13, v9, v12
	s_and_saveexec_b32 s0, vcc_lo
	s_cbranch_execz .LBB5_21
; %bb.20:
	s_waitcnt lgkmcnt(0)
	v_add_f32_e32 v12, v12, v13
	v_add_nc_u32_e32 v0, 0, v0
	ds_store_b32 v0, v12
.LBB5_21:
	s_or_b32 exec_lo, exec_lo, s0
	s_waitcnt lgkmcnt(0)
	s_barrier
	buffer_gl0_inv
	ds_load_b32 v0, v10
	s_and_not1_b32 vcc_lo, exec_lo, s1
	s_lshl_b64 s[0:1], s[2:3], 11
	s_waitcnt lgkmcnt(0)
	ds_bpermute_b32 v4, v4, v0
	s_waitcnt lgkmcnt(0)
	v_add_f32_e32 v0, v0, v4
	ds_bpermute_b32 v4, v6, v0
	s_waitcnt lgkmcnt(0)
	v_add_f32_e32 v0, v0, v4
	;; [unrolled: 3-line block ×5, first 2 shown]
	s_cbranch_vccnz .LBB5_23
; %bb.22:
	s_lshl_b64 s[2:3], s[14:15], 2
	s_delay_alu instid0(SALU_CYCLE_1) | instskip(SKIP_4) | instid1(VALU_DEP_1)
	s_add_u32 s2, s8, s2
	s_addc_u32 s3, s9, s3
	s_load_b32 s2, s[2:3], 0x0
	s_waitcnt lgkmcnt(0)
	v_sub_f32_e32 v4, s2, v11
	v_mul_f32_e32 v6, 0x3fb8aa3b, v4
	v_cmp_ngt_f32_e32 vcc_lo, 0xc2ce8ed0, v4
	s_delay_alu instid0(VALU_DEP_2) | instskip(SKIP_1) | instid1(VALU_DEP_1)
	v_fma_f32 v7, 0x3fb8aa3b, v4, -v6
	v_rndne_f32_e32 v8, v6
	v_dual_fmamk_f32 v7, v4, 0x32a5705f, v7 :: v_dual_sub_f32 v6, v6, v8
	s_delay_alu instid0(VALU_DEP_1) | instskip(SKIP_1) | instid1(VALU_DEP_2)
	v_add_f32_e32 v6, v6, v7
	v_cvt_i32_f32_e32 v7, v8
	v_exp_f32_e32 v6, v6
	s_waitcnt_depctr 0xfff
	v_ldexp_f32 v6, v6, v7
	s_delay_alu instid0(VALU_DEP_1) | instskip(SKIP_1) | instid1(VALU_DEP_2)
	v_cndmask_b32_e32 v6, 0, v6, vcc_lo
	v_cmp_nlt_f32_e32 vcc_lo, 0x42b17218, v4
	v_cndmask_b32_e32 v4, 0x7f800000, v6, vcc_lo
	s_delay_alu instid0(VALU_DEP_1)
	v_add_f32_e32 v0, v0, v4
.LBB5_23:
	s_delay_alu instid0(VALU_DEP_1)
	v_div_scale_f32 v4, null, v0, v0, 1.0
	v_div_scale_f32 v8, vcc_lo, 1.0, v0, 1.0
	ds_load_b32 v2, v2 offset:128
	ds_load_b32 v3, v3 offset:4096
	v_rcp_f32_e32 v6, v4
	s_lshl_b64 s[0:1], s[0:1], 2
	s_delay_alu instid0(SALU_CYCLE_1) | instskip(SKIP_3) | instid1(VALU_DEP_1)
	s_add_u32 s0, s10, s0
	s_addc_u32 s1, s11, s1
	s_waitcnt_depctr 0xfff
	v_fma_f32 v7, -v4, v6, 1.0
	v_fmac_f32_e32 v6, v7, v6
	s_delay_alu instid0(VALU_DEP_1) | instskip(NEXT) | instid1(VALU_DEP_1)
	v_mul_f32_e32 v7, v8, v6
	v_fma_f32 v9, -v4, v7, v8
	s_delay_alu instid0(VALU_DEP_1) | instskip(NEXT) | instid1(VALU_DEP_1)
	v_fmac_f32_e32 v7, v9, v6
	v_fma_f32 v4, -v4, v7, v8
	s_delay_alu instid0(VALU_DEP_1) | instskip(NEXT) | instid1(VALU_DEP_1)
	v_div_fmas_f32 v4, v4, v6, v7
	v_div_fixup_f32 v0, v4, v0, 1.0
	s_waitcnt lgkmcnt(1)
	s_delay_alu instid0(VALU_DEP_1)
	v_mul_f32_e32 v2, v0, v2
	s_waitcnt lgkmcnt(0)
	v_mul_f32_e32 v0, v0, v3
	s_clause 0x1
	global_store_b32 v5, v2, s[0:1]
	global_store_b32 v1, v0, s[0:1]
	s_nop 0
	s_sendmsg sendmsg(MSG_DEALLOC_VGPRS)
	s_endpgm
	.section	.rodata,"a",@progbits
	.p2align	6, 0x0
	.amdhsa_kernel _ZL12soft_max_f32ILb1ELi2048ELi1024E6__halfEvPKfPKT2_S2_Pf15soft_max_params
		.amdhsa_group_segment_fixed_size 0
		.amdhsa_private_segment_fixed_size 0
		.amdhsa_kernarg_size 416
		.amdhsa_user_sgpr_count 13
		.amdhsa_user_sgpr_dispatch_ptr 0
		.amdhsa_user_sgpr_queue_ptr 0
		.amdhsa_user_sgpr_kernarg_segment_ptr 1
		.amdhsa_user_sgpr_dispatch_id 0
		.amdhsa_user_sgpr_private_segment_size 0
		.amdhsa_wavefront_size32 1
		.amdhsa_uses_dynamic_stack 0
		.amdhsa_enable_private_segment 0
		.amdhsa_system_sgpr_workgroup_id_x 1
		.amdhsa_system_sgpr_workgroup_id_y 1
		.amdhsa_system_sgpr_workgroup_id_z 1
		.amdhsa_system_sgpr_workgroup_info 0
		.amdhsa_system_vgpr_workitem_id 0
		.amdhsa_next_free_vgpr 20
		.amdhsa_next_free_sgpr 28
		.amdhsa_reserve_vcc 1
		.amdhsa_float_round_mode_32 0
		.amdhsa_float_round_mode_16_64 0
		.amdhsa_float_denorm_mode_32 3
		.amdhsa_float_denorm_mode_16_64 3
		.amdhsa_dx10_clamp 1
		.amdhsa_ieee_mode 1
		.amdhsa_fp16_overflow 0
		.amdhsa_workgroup_processor_mode 1
		.amdhsa_memory_ordered 1
		.amdhsa_forward_progress 0
		.amdhsa_shared_vgpr_count 0
		.amdhsa_exception_fp_ieee_invalid_op 0
		.amdhsa_exception_fp_denorm_src 0
		.amdhsa_exception_fp_ieee_div_zero 0
		.amdhsa_exception_fp_ieee_overflow 0
		.amdhsa_exception_fp_ieee_underflow 0
		.amdhsa_exception_fp_ieee_inexact 0
		.amdhsa_exception_int_div_zero 0
	.end_amdhsa_kernel
	.section	.text._ZL12soft_max_f32ILb1ELi2048ELi1024E6__halfEvPKfPKT2_S2_Pf15soft_max_params,"axG",@progbits,_ZL12soft_max_f32ILb1ELi2048ELi1024E6__halfEvPKfPKT2_S2_Pf15soft_max_params,comdat
.Lfunc_end5:
	.size	_ZL12soft_max_f32ILb1ELi2048ELi1024E6__halfEvPKfPKT2_S2_Pf15soft_max_params, .Lfunc_end5-_ZL12soft_max_f32ILb1ELi2048ELi1024E6__halfEvPKfPKT2_S2_Pf15soft_max_params
                                        ; -- End function
	.section	.AMDGPU.csdata,"",@progbits
; Kernel info:
; codeLenInByte = 4512
; NumSgprs: 30
; NumVgprs: 20
; ScratchSize: 0
; MemoryBound: 0
; FloatMode: 240
; IeeeMode: 1
; LDSByteSize: 0 bytes/workgroup (compile time only)
; SGPRBlocks: 3
; VGPRBlocks: 2
; NumSGPRsForWavesPerEU: 30
; NumVGPRsForWavesPerEU: 20
; Occupancy: 16
; WaveLimiterHint : 1
; COMPUTE_PGM_RSRC2:SCRATCH_EN: 0
; COMPUTE_PGM_RSRC2:USER_SGPR: 13
; COMPUTE_PGM_RSRC2:TRAP_HANDLER: 0
; COMPUTE_PGM_RSRC2:TGID_X_EN: 1
; COMPUTE_PGM_RSRC2:TGID_Y_EN: 1
; COMPUTE_PGM_RSRC2:TGID_Z_EN: 1
; COMPUTE_PGM_RSRC2:TIDIG_COMP_CNT: 0
	.section	.text._ZL12soft_max_f32ILb1ELi1024ELi1024E6__halfEvPKfPKT2_S2_Pf15soft_max_params,"axG",@progbits,_ZL12soft_max_f32ILb1ELi1024ELi1024E6__halfEvPKfPKT2_S2_Pf15soft_max_params,comdat
	.globl	_ZL12soft_max_f32ILb1ELi1024ELi1024E6__halfEvPKfPKT2_S2_Pf15soft_max_params ; -- Begin function _ZL12soft_max_f32ILb1ELi1024ELi1024E6__halfEvPKfPKT2_S2_Pf15soft_max_params
	.p2align	8
	.type	_ZL12soft_max_f32ILb1ELi1024ELi1024E6__halfEvPKfPKT2_S2_Pf15soft_max_params,@function
_ZL12soft_max_f32ILb1ELi1024ELi1024E6__halfEvPKfPKT2_S2_Pf15soft_max_params: ; @_ZL12soft_max_f32ILb1ELi1024ELi1024E6__halfEvPKfPKT2_S2_Pf15soft_max_params
; %bb.0:
	s_clause 0x1
	s_load_b256 s[16:23], s[0:1], 0x68
	s_load_b64 s[4:5], s[0:1], 0x88
	s_mov_b32 s2, s15
	s_mov_b32 s15, 0
	s_delay_alu instid0(SALU_CYCLE_1) | instskip(SKIP_2) | instid1(SALU_CYCLE_1)
	s_mov_b32 s6, s15
	s_waitcnt lgkmcnt(0)
	s_mov_b32 s7, s23
	s_cmp_lg_u64 s[6:7], 0
	s_cbranch_scc0 .LBB6_10
; %bb.1:
	s_ashr_i32 s6, s23, 31
	s_delay_alu instid0(SALU_CYCLE_1) | instskip(SKIP_2) | instid1(SALU_CYCLE_1)
	s_add_u32 s8, s22, s6
	s_mov_b32 s7, s6
	s_addc_u32 s9, s23, s6
	s_xor_b64 s[6:7], s[8:9], s[6:7]
	s_delay_alu instid0(SALU_CYCLE_1) | instskip(SKIP_3) | instid1(VALU_DEP_1)
	v_cvt_f32_u32_e32 v1, s6
	v_cvt_f32_u32_e32 v2, s7
	s_sub_u32 s9, 0, s6
	s_subb_u32 s10, 0, s7
	v_fmamk_f32 v1, v2, 0x4f800000, v1
	s_delay_alu instid0(VALU_DEP_1) | instskip(SKIP_2) | instid1(VALU_DEP_1)
	v_rcp_f32_e32 v1, v1
	s_waitcnt_depctr 0xfff
	v_mul_f32_e32 v1, 0x5f7ffffc, v1
	v_mul_f32_e32 v2, 0x2f800000, v1
	s_delay_alu instid0(VALU_DEP_1) | instskip(NEXT) | instid1(VALU_DEP_1)
	v_trunc_f32_e32 v2, v2
	v_fmamk_f32 v1, v2, 0xcf800000, v1
	v_cvt_u32_f32_e32 v2, v2
	s_delay_alu instid0(VALU_DEP_2) | instskip(NEXT) | instid1(VALU_DEP_2)
	v_cvt_u32_f32_e32 v1, v1
	v_readfirstlane_b32 s3, v2
	s_delay_alu instid0(VALU_DEP_2) | instskip(NEXT) | instid1(VALU_DEP_2)
	v_readfirstlane_b32 s8, v1
	s_mul_i32 s11, s9, s3
	s_delay_alu instid0(VALU_DEP_1)
	s_mul_hi_u32 s23, s9, s8
	s_mul_i32 s12, s10, s8
	s_add_i32 s11, s23, s11
	s_mul_i32 s24, s9, s8
	s_add_i32 s11, s11, s12
	s_mul_hi_u32 s23, s8, s24
	s_mul_hi_u32 s25, s3, s24
	s_mul_i32 s12, s3, s24
	s_mul_hi_u32 s24, s8, s11
	s_mul_i32 s8, s8, s11
	s_mul_hi_u32 s26, s3, s11
	s_add_u32 s8, s23, s8
	s_addc_u32 s23, 0, s24
	s_add_u32 s8, s8, s12
	s_mul_i32 s11, s3, s11
	s_addc_u32 s8, s23, s25
	s_addc_u32 s12, s26, 0
	s_add_u32 s8, s8, s11
	s_addc_u32 s11, 0, s12
	v_add_co_u32 v1, s8, v1, s8
	s_delay_alu instid0(VALU_DEP_1) | instskip(SKIP_1) | instid1(VALU_DEP_1)
	s_cmp_lg_u32 s8, 0
	s_addc_u32 s3, s3, s11
	v_readfirstlane_b32 s8, v1
	s_mul_i32 s11, s9, s3
	s_delay_alu instid0(VALU_DEP_1)
	s_mul_hi_u32 s12, s9, s8
	s_mul_i32 s10, s10, s8
	s_add_i32 s11, s12, s11
	s_mul_i32 s9, s9, s8
	s_add_i32 s11, s11, s10
	s_mul_hi_u32 s12, s3, s9
	s_mul_i32 s23, s3, s9
	s_mul_hi_u32 s9, s8, s9
	s_mul_hi_u32 s24, s8, s11
	s_mul_i32 s8, s8, s11
	s_mul_hi_u32 s10, s3, s11
	s_add_u32 s8, s9, s8
	s_addc_u32 s9, 0, s24
	s_add_u32 s8, s8, s23
	s_mul_i32 s11, s3, s11
	s_addc_u32 s8, s9, s12
	s_addc_u32 s9, s10, 0
	s_add_u32 s8, s8, s11
	s_addc_u32 s9, 0, s9
	v_add_co_u32 v1, s8, v1, s8
	s_delay_alu instid0(VALU_DEP_1) | instskip(SKIP_1) | instid1(VALU_DEP_1)
	s_cmp_lg_u32 s8, 0
	s_addc_u32 s3, s3, s9
	v_readfirstlane_b32 s8, v1
	s_mul_i32 s9, s14, s3
	s_mul_hi_u32 s3, s14, s3
	s_delay_alu instid0(VALU_DEP_1) | instskip(NEXT) | instid1(SALU_CYCLE_1)
	s_mul_hi_u32 s8, s14, s8
	s_add_u32 s8, s8, s9
	s_addc_u32 s3, 0, s3
	s_add_u32 s8, s8, 0
	s_addc_u32 s3, s3, 0
	s_addc_u32 s8, 0, 0
	s_add_u32 s3, s3, 0
	s_addc_u32 s8, 0, s8
	s_mul_hi_u32 s9, s6, s3
	s_mul_i32 s8, s6, s8
	s_mul_i32 s10, s7, s3
	;; [unrolled: 1-line block ×3, first 2 shown]
	s_add_i32 s8, s9, s8
	v_sub_co_u32 v1, s3, s14, s3
	s_add_i32 s8, s8, s10
	s_delay_alu instid0(SALU_CYCLE_1) | instskip(SKIP_1) | instid1(VALU_DEP_1)
	s_sub_i32 s9, 0, s8
	s_cmp_lg_u32 s3, 0
	v_sub_co_u32 v2, s10, v1, s6
	s_subb_u32 s9, s9, s7
	s_cmp_lg_u32 s10, 0
	s_subb_u32 s11, s9, 0
	s_delay_alu instid0(VALU_DEP_1)
	v_cmp_le_u32_e32 vcc_lo, s6, v2
	s_cmp_ge_u32 s11, s7
	s_cselect_b32 s12, -1, 0
	s_cmp_eq_u32 s11, s7
	v_cndmask_b32_e64 v3, 0, -1, vcc_lo
	s_cselect_b32 vcc_lo, -1, 0
	s_cmp_lg_u32 s10, 0
	v_sub_co_u32 v4, s10, v2, s6
	s_subb_u32 s9, s9, s7
	s_cmp_lg_u32 s10, 0
	v_cndmask_b32_e32 v3, s12, v3, vcc_lo
	s_subb_u32 s9, s9, 0
	s_cmp_lg_u32 s3, 0
	v_cmp_le_u32_e32 vcc_lo, s6, v1
	s_subb_u32 s8, 0, s8
	s_delay_alu instid0(SALU_CYCLE_1)
	s_cmp_ge_u32 s8, s7
	v_cndmask_b32_e64 v5, 0, -1, vcc_lo
	s_cselect_b32 s6, -1, 0
	s_cmp_eq_u32 s8, s7
	v_cmp_ne_u32_e32 vcc_lo, 0, v3
	v_mov_b32_e32 v3, s9
	s_cselect_b32 s3, -1, 0
	s_delay_alu instid0(SALU_CYCLE_1) | instskip(SKIP_1) | instid1(VALU_DEP_3)
	v_cndmask_b32_e64 v5, s6, v5, s3
	v_cndmask_b32_e32 v2, v2, v4, vcc_lo
	v_cndmask_b32_e32 v3, s11, v3, vcc_lo
	s_mov_b32 s3, s15
	s_delay_alu instid0(VALU_DEP_3) | instskip(NEXT) | instid1(VALU_DEP_3)
	v_cmp_ne_u32_e32 vcc_lo, 0, v5
	v_cndmask_b32_e32 v1, v1, v2, vcc_lo
	s_delay_alu instid0(VALU_DEP_3) | instskip(NEXT) | instid1(VALU_DEP_2)
	v_cndmask_b32_e32 v3, s8, v3, vcc_lo
	v_sub_co_u32 v1, vcc_lo, v1, 0
	s_delay_alu instid0(VALU_DEP_2)
	v_subrev_co_ci_u32_e32 v2, vcc_lo, 0, v3, vcc_lo
	s_and_not1_b32 vcc_lo, exec_lo, s3
	s_cbranch_vccnz .LBB6_3
.LBB6_2:
	v_cvt_f32_u32_e32 v1, s22
	s_mov_b32 s7, 0
	s_sub_i32 s6, 0, s22
	s_delay_alu instid0(VALU_DEP_1) | instskip(SKIP_2) | instid1(VALU_DEP_1)
	v_rcp_iflag_f32_e32 v1, v1
	s_waitcnt_depctr 0xfff
	v_mul_f32_e32 v1, 0x4f7ffffe, v1
	v_cvt_u32_f32_e32 v1, v1
	s_delay_alu instid0(VALU_DEP_1) | instskip(NEXT) | instid1(VALU_DEP_1)
	v_readfirstlane_b32 s3, v1
	s_mul_i32 s6, s6, s3
	s_delay_alu instid0(SALU_CYCLE_1) | instskip(NEXT) | instid1(SALU_CYCLE_1)
	s_mul_hi_u32 s6, s3, s6
	s_add_i32 s3, s3, s6
	s_delay_alu instid0(SALU_CYCLE_1) | instskip(NEXT) | instid1(SALU_CYCLE_1)
	s_mul_hi_u32 s3, s14, s3
	s_mul_i32 s3, s3, s22
	s_delay_alu instid0(SALU_CYCLE_1) | instskip(NEXT) | instid1(SALU_CYCLE_1)
	s_sub_i32 s3, s14, s3
	s_sub_i32 s6, s3, s22
	s_cmp_ge_u32 s3, s22
	s_cselect_b32 s3, s6, s3
	s_delay_alu instid0(SALU_CYCLE_1) | instskip(SKIP_2) | instid1(SALU_CYCLE_1)
	s_sub_i32 s6, s3, s22
	s_cmp_ge_u32 s3, s22
	s_cselect_b32 s6, s6, s3
	v_dual_mov_b32 v1, s6 :: v_dual_mov_b32 v2, s7
.LBB6_3:
	s_load_b64 s[22:23], s[0:1], 0x90
	s_mov_b32 s6, 0
	s_mov_b32 s7, s5
	s_delay_alu instid0(SALU_CYCLE_1)
	s_cmp_lg_u64 s[6:7], 0
	s_cbranch_scc0 .LBB6_11
; %bb.4:
	s_ashr_i32 s8, s5, 31
	s_delay_alu instid0(SALU_CYCLE_1) | instskip(SKIP_2) | instid1(SALU_CYCLE_1)
	s_add_u32 s10, s4, s8
	s_mov_b32 s9, s8
	s_addc_u32 s11, s5, s8
	s_xor_b64 s[8:9], s[10:11], s[8:9]
	s_delay_alu instid0(SALU_CYCLE_1) | instskip(SKIP_3) | instid1(VALU_DEP_1)
	v_cvt_f32_u32_e32 v3, s8
	v_cvt_f32_u32_e32 v4, s9
	s_sub_u32 s7, 0, s8
	s_subb_u32 s10, 0, s9
	v_fmamk_f32 v3, v4, 0x4f800000, v3
	s_delay_alu instid0(VALU_DEP_1) | instskip(SKIP_2) | instid1(VALU_DEP_1)
	v_rcp_f32_e32 v3, v3
	s_waitcnt_depctr 0xfff
	v_mul_f32_e32 v3, 0x5f7ffffc, v3
	v_mul_f32_e32 v4, 0x2f800000, v3
	s_delay_alu instid0(VALU_DEP_1) | instskip(NEXT) | instid1(VALU_DEP_1)
	v_trunc_f32_e32 v4, v4
	v_fmamk_f32 v3, v4, 0xcf800000, v3
	v_cvt_u32_f32_e32 v4, v4
	s_delay_alu instid0(VALU_DEP_2) | instskip(NEXT) | instid1(VALU_DEP_2)
	v_cvt_u32_f32_e32 v3, v3
	v_readfirstlane_b32 s3, v4
	s_delay_alu instid0(VALU_DEP_2) | instskip(NEXT) | instid1(VALU_DEP_2)
	v_readfirstlane_b32 s5, v3
	s_mul_i32 s11, s7, s3
	s_delay_alu instid0(VALU_DEP_1)
	s_mul_hi_u32 s24, s7, s5
	s_mul_i32 s12, s10, s5
	s_add_i32 s11, s24, s11
	s_mul_i32 s25, s7, s5
	s_add_i32 s11, s11, s12
	s_mul_hi_u32 s24, s5, s25
	s_mul_hi_u32 s26, s3, s25
	s_mul_i32 s12, s3, s25
	s_mul_hi_u32 s25, s5, s11
	s_mul_i32 s5, s5, s11
	s_mul_hi_u32 s27, s3, s11
	s_add_u32 s5, s24, s5
	s_addc_u32 s24, 0, s25
	s_add_u32 s5, s5, s12
	s_mul_i32 s11, s3, s11
	s_addc_u32 s5, s24, s26
	s_addc_u32 s12, s27, 0
	s_add_u32 s5, s5, s11
	s_addc_u32 s11, 0, s12
	v_add_co_u32 v3, s5, v3, s5
	s_delay_alu instid0(VALU_DEP_1) | instskip(SKIP_1) | instid1(VALU_DEP_1)
	s_cmp_lg_u32 s5, 0
	s_addc_u32 s3, s3, s11
	v_readfirstlane_b32 s5, v3
	s_mul_i32 s11, s7, s3
	s_delay_alu instid0(VALU_DEP_1)
	s_mul_hi_u32 s12, s7, s5
	s_mul_i32 s10, s10, s5
	s_add_i32 s11, s12, s11
	s_mul_i32 s7, s7, s5
	s_add_i32 s11, s11, s10
	s_mul_hi_u32 s12, s3, s7
	s_mul_i32 s24, s3, s7
	s_mul_hi_u32 s7, s5, s7
	s_mul_hi_u32 s25, s5, s11
	s_mul_i32 s5, s5, s11
	s_mul_hi_u32 s10, s3, s11
	s_add_u32 s5, s7, s5
	s_addc_u32 s7, 0, s25
	s_add_u32 s5, s5, s24
	s_mul_i32 s11, s3, s11
	s_addc_u32 s5, s7, s12
	s_addc_u32 s7, s10, 0
	s_add_u32 s5, s5, s11
	s_addc_u32 s7, 0, s7
	v_add_co_u32 v3, s5, v3, s5
	s_delay_alu instid0(VALU_DEP_1) | instskip(SKIP_1) | instid1(VALU_DEP_1)
	s_cmp_lg_u32 s5, 0
	s_addc_u32 s3, s3, s7
	v_readfirstlane_b32 s5, v3
	s_mul_i32 s7, s2, s3
	s_mul_hi_u32 s3, s2, s3
	s_delay_alu instid0(VALU_DEP_1) | instskip(NEXT) | instid1(SALU_CYCLE_1)
	s_mul_hi_u32 s5, s2, s5
	s_add_u32 s5, s5, s7
	s_addc_u32 s3, 0, s3
	s_add_u32 s5, s5, 0
	s_addc_u32 s3, s3, 0
	s_addc_u32 s5, 0, 0
	s_add_u32 s3, s3, 0
	s_addc_u32 s5, 0, s5
	s_mul_hi_u32 s7, s8, s3
	s_mul_i32 s5, s8, s5
	s_mul_i32 s10, s9, s3
	s_mul_i32 s3, s8, s3
	s_add_i32 s5, s7, s5
	v_sub_co_u32 v3, s3, s2, s3
	s_add_i32 s5, s5, s10
	s_delay_alu instid0(SALU_CYCLE_1) | instskip(SKIP_1) | instid1(VALU_DEP_1)
	s_sub_i32 s7, 0, s5
	s_cmp_lg_u32 s3, 0
	v_sub_co_u32 v4, s10, v3, s8
	s_subb_u32 s7, s7, s9
	s_cmp_lg_u32 s10, 0
	s_subb_u32 s11, s7, 0
	s_delay_alu instid0(VALU_DEP_1)
	v_cmp_le_u32_e32 vcc_lo, s8, v4
	s_cmp_ge_u32 s11, s9
	s_cselect_b32 s12, -1, 0
	s_cmp_eq_u32 s11, s9
	v_cndmask_b32_e64 v5, 0, -1, vcc_lo
	s_cselect_b32 vcc_lo, -1, 0
	s_cmp_lg_u32 s10, 0
	v_sub_co_u32 v6, s10, v4, s8
	s_subb_u32 s7, s7, s9
	s_cmp_lg_u32 s10, 0
	v_cndmask_b32_e32 v5, s12, v5, vcc_lo
	s_subb_u32 s7, s7, 0
	s_cmp_lg_u32 s3, 0
	v_cmp_le_u32_e32 vcc_lo, s8, v3
	s_subb_u32 s5, 0, s5
	s_delay_alu instid0(SALU_CYCLE_1)
	s_cmp_ge_u32 s5, s9
	v_cndmask_b32_e64 v7, 0, -1, vcc_lo
	s_cselect_b32 s8, -1, 0
	s_cmp_eq_u32 s5, s9
	v_cmp_ne_u32_e32 vcc_lo, 0, v5
	v_mov_b32_e32 v5, s7
	s_cselect_b32 s3, -1, 0
	s_delay_alu instid0(SALU_CYCLE_1) | instskip(SKIP_1) | instid1(VALU_DEP_3)
	v_cndmask_b32_e64 v7, s8, v7, s3
	v_cndmask_b32_e32 v4, v4, v6, vcc_lo
	v_cndmask_b32_e32 v5, s11, v5, vcc_lo
	s_delay_alu instid0(VALU_DEP_3) | instskip(NEXT) | instid1(VALU_DEP_3)
	v_cmp_ne_u32_e32 vcc_lo, 0, v7
	v_cndmask_b32_e32 v3, v3, v4, vcc_lo
	s_delay_alu instid0(VALU_DEP_3) | instskip(NEXT) | instid1(VALU_DEP_2)
	v_cndmask_b32_e32 v5, s5, v5, vcc_lo
	v_sub_co_u32 v3, vcc_lo, v3, 0
	s_delay_alu instid0(VALU_DEP_2)
	v_subrev_co_ci_u32_e32 v4, vcc_lo, 0, v5, vcc_lo
	s_and_not1_b32 vcc_lo, exec_lo, s6
	s_cbranch_vccnz .LBB6_6
.LBB6_5:
	v_cvt_f32_u32_e32 v3, s4
	s_sub_i32 s5, 0, s4
	s_delay_alu instid0(VALU_DEP_1) | instskip(SKIP_2) | instid1(VALU_DEP_1)
	v_rcp_iflag_f32_e32 v3, v3
	s_waitcnt_depctr 0xfff
	v_mul_f32_e32 v3, 0x4f7ffffe, v3
	v_cvt_u32_f32_e32 v3, v3
	s_delay_alu instid0(VALU_DEP_1) | instskip(NEXT) | instid1(VALU_DEP_1)
	v_readfirstlane_b32 s3, v3
	s_mul_i32 s5, s5, s3
	s_delay_alu instid0(SALU_CYCLE_1) | instskip(NEXT) | instid1(SALU_CYCLE_1)
	s_mul_hi_u32 s5, s3, s5
	s_add_i32 s3, s3, s5
	s_delay_alu instid0(SALU_CYCLE_1) | instskip(NEXT) | instid1(SALU_CYCLE_1)
	s_mul_hi_u32 s3, s2, s3
	s_mul_i32 s3, s3, s4
	s_delay_alu instid0(SALU_CYCLE_1) | instskip(NEXT) | instid1(SALU_CYCLE_1)
	s_sub_i32 s3, s2, s3
	s_sub_i32 s5, s3, s4
	s_cmp_ge_u32 s3, s4
	s_cselect_b32 s3, s5, s3
	s_mov_b32 s5, 0
	s_sub_i32 s6, s3, s4
	s_cmp_ge_u32 s3, s4
	s_cselect_b32 s4, s6, s3
	s_delay_alu instid0(SALU_CYCLE_1)
	v_dual_mov_b32 v3, s4 :: v_dual_mov_b32 v4, s5
.LBB6_6:
	s_load_b64 s[24:25], s[0:1], 0xa0
	s_waitcnt lgkmcnt(0)
	v_cmp_le_f32_e64 s3, s23, 0
	v_mov_b32_e32 v6, 1.0
	s_delay_alu instid0(VALU_DEP_2)
	s_and_b32 vcc_lo, exec_lo, s3
	s_cbranch_vccnz .LBB6_8
; %bb.7:
	s_clause 0x1
	s_load_b32 s3, s[0:1], 0x28
	s_load_b64 s[4:5], s[0:1], 0x98
	s_add_i32 s7, s14, 1
	s_waitcnt lgkmcnt(0)
	s_sub_i32 s6, s14, s3
	v_mov_b32_e32 v5, s4
	s_lshl_b32 s6, s6, 1
	s_delay_alu instid0(SALU_CYCLE_1)
	s_or_b32 s4, s6, 1
	s_cmp_lt_u32 s14, s3
	s_cselect_b32 vcc_lo, -1, 0
	v_cndmask_b32_e32 v7, s5, v5, vcc_lo
	s_and_b32 s3, vcc_lo, exec_lo
	s_cselect_b32 s3, s7, s4
	s_mov_b32 s4, 0x3e76c4e1
	v_cvt_f32_i32_e32 v5, s3
	v_cmp_neq_f32_e32 vcc_lo, 1.0, v7
	s_delay_alu instid0(VALU_DEP_2) | instskip(NEXT) | instid1(VALU_DEP_1)
	v_cndmask_b32_e32 v8, 1.0, v5, vcc_lo
	v_cmp_eq_f32_e32 vcc_lo, 0, v8
	v_cndmask_b32_e64 v9, |v7|, 1.0, vcc_lo
	s_delay_alu instid0(VALU_DEP_1) | instskip(NEXT) | instid1(VALU_DEP_1)
	v_frexp_mant_f32_e32 v5, v9
	v_cmp_gt_f32_e64 s3, 0x3f2aaaab, v5
	s_delay_alu instid0(VALU_DEP_1) | instskip(NEXT) | instid1(VALU_DEP_1)
	v_cndmask_b32_e64 v6, 1.0, 2.0, s3
	v_mul_f32_e32 v5, v5, v6
	s_delay_alu instid0(VALU_DEP_1) | instskip(SKIP_1) | instid1(VALU_DEP_2)
	v_add_f32_e32 v6, 1.0, v5
	v_add_f32_e32 v11, -1.0, v5
	v_rcp_f32_e32 v10, v6
	s_waitcnt_depctr 0xfff
	v_mul_f32_e32 v12, v11, v10
	s_delay_alu instid0(VALU_DEP_1) | instskip(NEXT) | instid1(VALU_DEP_1)
	v_dual_add_f32 v13, -1.0, v6 :: v_dual_mul_f32 v14, v6, v12
	v_sub_f32_e32 v5, v5, v13
	v_cndmask_b32_e64 v7, v7, 1.0, vcc_lo
	s_delay_alu instid0(VALU_DEP_3) | instskip(NEXT) | instid1(VALU_DEP_2)
	v_fma_f32 v6, v12, v6, -v14
	v_cmp_eq_f32_e64 s5, 0, v7
	s_delay_alu instid0(VALU_DEP_2) | instskip(NEXT) | instid1(VALU_DEP_1)
	v_fmac_f32_e32 v6, v12, v5
	v_add_f32_e32 v5, v14, v6
	s_delay_alu instid0(VALU_DEP_1) | instskip(NEXT) | instid1(VALU_DEP_1)
	v_dual_sub_f32 v14, v5, v14 :: v_dual_sub_f32 v13, v11, v5
	v_dual_sub_f32 v6, v14, v6 :: v_dual_sub_f32 v11, v11, v13
	s_delay_alu instid0(VALU_DEP_1) | instskip(NEXT) | instid1(VALU_DEP_1)
	v_sub_f32_e32 v5, v11, v5
	v_add_f32_e32 v5, v6, v5
	s_delay_alu instid0(VALU_DEP_1) | instskip(NEXT) | instid1(VALU_DEP_1)
	v_add_f32_e32 v5, v13, v5
	v_mul_f32_e32 v5, v10, v5
	s_delay_alu instid0(VALU_DEP_1) | instskip(NEXT) | instid1(VALU_DEP_1)
	v_add_f32_e32 v10, v12, v5
	v_sub_f32_e32 v6, v10, v12
	v_mul_f32_e32 v11, v10, v10
	s_delay_alu instid0(VALU_DEP_2) | instskip(NEXT) | instid1(VALU_DEP_2)
	v_sub_f32_e32 v12, v5, v6
	v_fma_f32 v13, v10, v10, -v11
	s_delay_alu instid0(VALU_DEP_2) | instskip(NEXT) | instid1(VALU_DEP_1)
	v_add_f32_e32 v5, v12, v12
	v_fmac_f32_e32 v13, v10, v5
	v_cvt_f64_f32_e32 v[5:6], v9
	s_delay_alu instid0(VALU_DEP_2) | instskip(NEXT) | instid1(VALU_DEP_1)
	v_add_f32_e32 v14, v11, v13
	v_fmaak_f32 v15, s4, v14, 0x3e91f4c4
	v_sub_f32_e32 v11, v14, v11
	v_mul_f32_e32 v18, v10, v14
	s_delay_alu instid0(VALU_DEP_3) | instskip(NEXT) | instid1(VALU_DEP_3)
	v_fmaak_f32 v15, v14, v15, 0x3ecccdef
	v_sub_f32_e32 v11, v13, v11
	s_delay_alu instid0(VALU_DEP_2) | instskip(NEXT) | instid1(VALU_DEP_1)
	v_mul_f32_e32 v16, v14, v15
	v_fma_f32 v13, v14, v15, -v16
	s_delay_alu instid0(VALU_DEP_1) | instskip(NEXT) | instid1(VALU_DEP_1)
	v_fmac_f32_e32 v13, v11, v15
	v_add_f32_e32 v15, v16, v13
	v_frexp_exp_i32_f64_e32 v5, v[5:6]
	s_delay_alu instid0(VALU_DEP_2) | instskip(NEXT) | instid1(VALU_DEP_1)
	v_sub_f32_e32 v16, v15, v16
	v_sub_f32_e32 v6, v13, v16
	v_fma_f32 v16, v14, v10, -v18
	s_delay_alu instid0(VALU_DEP_2) | instskip(NEXT) | instid1(VALU_DEP_2)
	v_add_f32_e32 v6, 0x31739010, v6
	v_dual_add_f32 v17, 0x3f2aaaaa, v15 :: v_dual_fmac_f32 v16, v14, v12
	v_ldexp_f32 v12, v12, 1
	s_delay_alu instid0(VALU_DEP_2) | instskip(NEXT) | instid1(VALU_DEP_1)
	v_dual_add_f32 v13, 0xbf2aaaaa, v17 :: v_dual_fmac_f32 v16, v11, v10
	v_sub_f32_e32 v13, v15, v13
	s_delay_alu instid0(VALU_DEP_1) | instskip(NEXT) | instid1(VALU_DEP_3)
	v_add_f32_e32 v6, v6, v13
	v_add_f32_e32 v13, v18, v16
	s_delay_alu instid0(VALU_DEP_2) | instskip(NEXT) | instid1(VALU_DEP_1)
	v_add_f32_e32 v11, v17, v6
	v_sub_f32_e32 v14, v17, v11
	s_delay_alu instid0(VALU_DEP_3) | instskip(SKIP_2) | instid1(VALU_DEP_4)
	v_mul_f32_e32 v15, v13, v11
	v_sub_f32_e32 v17, v13, v18
	v_subrev_co_ci_u32_e64 v5, s3, 0, v5, s3
	v_add_f32_e32 v6, v6, v14
	s_delay_alu instid0(VALU_DEP_4) | instskip(NEXT) | instid1(VALU_DEP_4)
	v_fma_f32 v14, v13, v11, -v15
	v_sub_f32_e32 v16, v16, v17
	s_delay_alu instid0(VALU_DEP_4) | instskip(NEXT) | instid1(VALU_DEP_3)
	v_cvt_f32_i32_e32 v5, v5
	v_fmac_f32_e32 v14, v13, v6
	v_ldexp_f32 v6, v10, 1
	s_delay_alu instid0(VALU_DEP_2) | instskip(NEXT) | instid1(VALU_DEP_1)
	v_fmac_f32_e32 v14, v16, v11
	v_add_f32_e32 v10, v15, v14
	s_delay_alu instid0(VALU_DEP_1) | instskip(NEXT) | instid1(VALU_DEP_1)
	v_add_f32_e32 v11, v6, v10
	v_dual_sub_f32 v6, v11, v6 :: v_dual_sub_f32 v13, v10, v15
	s_delay_alu instid0(VALU_DEP_1) | instskip(NEXT) | instid1(VALU_DEP_2)
	v_sub_f32_e32 v6, v10, v6
	v_sub_f32_e32 v13, v14, v13
	s_delay_alu instid0(VALU_DEP_1) | instskip(NEXT) | instid1(VALU_DEP_1)
	v_add_f32_e32 v10, v12, v13
	v_dual_mul_f32 v15, 0x3f317218, v5 :: v_dual_add_f32 v6, v10, v6
	s_delay_alu instid0(VALU_DEP_1) | instskip(NEXT) | instid1(VALU_DEP_2)
	v_fma_f32 v14, 0x3f317218, v5, -v15
	v_add_f32_e32 v12, v11, v6
	s_delay_alu instid0(VALU_DEP_1) | instskip(NEXT) | instid1(VALU_DEP_1)
	v_sub_f32_e32 v11, v12, v11
	v_dual_fmamk_f32 v5, v5, 0xb102e308, v14 :: v_dual_sub_f32 v6, v6, v11
	s_delay_alu instid0(VALU_DEP_1) | instskip(NEXT) | instid1(VALU_DEP_1)
	v_add_f32_e32 v10, v15, v5
	v_add_f32_e32 v13, v10, v12
	s_delay_alu instid0(VALU_DEP_1) | instskip(NEXT) | instid1(VALU_DEP_1)
	v_dual_sub_f32 v15, v10, v15 :: v_dual_sub_f32 v14, v13, v10
	v_sub_f32_e32 v16, v13, v14
	s_delay_alu instid0(VALU_DEP_2) | instskip(NEXT) | instid1(VALU_DEP_2)
	v_sub_f32_e32 v5, v5, v15
	v_dual_sub_f32 v11, v12, v14 :: v_dual_sub_f32 v10, v10, v16
	s_delay_alu instid0(VALU_DEP_2) | instskip(NEXT) | instid1(VALU_DEP_2)
	v_add_f32_e32 v12, v5, v6
	v_add_f32_e32 v10, v11, v10
	s_delay_alu instid0(VALU_DEP_1) | instskip(NEXT) | instid1(VALU_DEP_1)
	v_add_f32_e32 v10, v12, v10
	v_dual_sub_f32 v11, v12, v5 :: v_dual_add_f32 v14, v13, v10
	s_delay_alu instid0(VALU_DEP_1) | instskip(SKIP_1) | instid1(VALU_DEP_3)
	v_sub_f32_e32 v12, v12, v11
	v_sub_f32_e32 v6, v6, v11
	;; [unrolled: 1-line block ×3, first 2 shown]
	s_delay_alu instid0(VALU_DEP_3) | instskip(NEXT) | instid1(VALU_DEP_1)
	v_sub_f32_e32 v5, v5, v12
	v_add_f32_e32 v5, v6, v5
	s_delay_alu instid0(VALU_DEP_3) | instskip(NEXT) | instid1(VALU_DEP_1)
	v_sub_f32_e32 v6, v10, v11
	v_add_f32_e32 v5, v5, v6
	s_delay_alu instid0(VALU_DEP_1) | instskip(NEXT) | instid1(VALU_DEP_1)
	v_add_f32_e32 v6, v14, v5
	v_mul_f32_e32 v11, v8, v6
	v_sub_f32_e32 v10, v6, v14
	s_delay_alu instid0(VALU_DEP_2) | instskip(NEXT) | instid1(VALU_DEP_2)
	v_fma_f32 v6, v8, v6, -v11
	v_sub_f32_e32 v5, v5, v10
	v_cmp_class_f32_e64 s3, v11, 0x204
	s_delay_alu instid0(VALU_DEP_2) | instskip(NEXT) | instid1(VALU_DEP_1)
	v_fmac_f32_e32 v6, v8, v5
	v_add_f32_e32 v5, v11, v6
	s_delay_alu instid0(VALU_DEP_1) | instskip(NEXT) | instid1(VALU_DEP_1)
	v_cndmask_b32_e64 v10, v5, v11, s3
	v_cmp_eq_f32_e64 s3, 0x42b17218, v10
	s_delay_alu instid0(VALU_DEP_1) | instskip(SKIP_1) | instid1(VALU_DEP_2)
	v_cndmask_b32_e64 v12, 0, 0x37000000, s3
	v_cmp_neq_f32_e64 s3, 0x7f800000, |v10|
	v_sub_f32_e32 v13, v10, v12
	v_trunc_f32_e32 v10, v8
	s_delay_alu instid0(VALU_DEP_2) | instskip(NEXT) | instid1(VALU_DEP_1)
	v_mul_f32_e32 v14, 0x3fb8aa3b, v13
	v_fma_f32 v15, 0x3fb8aa3b, v13, -v14
	v_rndne_f32_e32 v16, v14
	s_delay_alu instid0(VALU_DEP_1) | instskip(NEXT) | instid1(VALU_DEP_1)
	v_dual_fmamk_f32 v15, v13, 0x32a5705f, v15 :: v_dual_sub_f32 v14, v14, v16
	v_add_f32_e32 v14, v14, v15
	v_sub_f32_e32 v5, v5, v11
	v_cvt_i32_f32_e32 v11, v16
	s_delay_alu instid0(VALU_DEP_3) | instskip(NEXT) | instid1(VALU_DEP_2)
	v_exp_f32_e32 v14, v14
	v_sub_f32_e32 v5, v6, v5
	s_delay_alu instid0(VALU_DEP_1)
	v_cndmask_b32_e64 v5, 0, v5, s3
	v_cmp_ngt_f32_e64 s3, 0xc2ce8ed0, v13
	s_waitcnt_depctr 0xfff
	v_ldexp_f32 v6, v14, v11
	v_mul_f32_e32 v11, 0.5, v8
	v_add_f32_e32 v5, v12, v5
	s_delay_alu instid0(VALU_DEP_3) | instskip(NEXT) | instid1(VALU_DEP_3)
	v_cndmask_b32_e64 v6, 0, v6, s3
	v_trunc_f32_e32 v14, v11
	v_cmp_nlt_f32_e64 s3, 0x42b17218, v13
	s_delay_alu instid0(VALU_DEP_2) | instskip(NEXT) | instid1(VALU_DEP_2)
	v_cmp_neq_f32_e64 s4, v14, v11
	v_cndmask_b32_e64 v6, 0x7f800000, v6, s3
	v_cmp_eq_f32_e64 s3, v10, v8
	s_delay_alu instid0(VALU_DEP_2) | instskip(NEXT) | instid1(VALU_DEP_2)
	v_fma_f32 v5, v6, v5, v6
	s_and_b32 vcc_lo, s3, s4
	v_cmp_class_f32_e64 s4, v6, 0x204
	v_cndmask_b32_e32 v10, 1.0, v7, vcc_lo
	s_delay_alu instid0(VALU_DEP_2) | instskip(SKIP_1) | instid1(VALU_DEP_2)
	v_cndmask_b32_e64 v5, v5, v6, s4
	v_cmp_gt_f32_e64 s4, 0, v8
	v_bfi_b32 v5, 0x7fffffff, v5, v10
	s_delay_alu instid0(VALU_DEP_2)
	s_xor_b32 s4, s4, s5
	v_cndmask_b32_e32 v10, 0, v7, vcc_lo
	v_cndmask_b32_e64 v6, 0x7f800000, 0, s4
	v_cmp_eq_f32_e32 vcc_lo, 0x7f800000, v9
	v_cndmask_b32_e64 v8, 0x7fc00000, v5, s3
	v_cmp_gt_f32_e64 s3, 0, v7
	s_delay_alu instid0(VALU_DEP_4) | instskip(SKIP_1) | instid1(VALU_DEP_2)
	v_bfi_b32 v6, 0x7fffffff, v6, v10
	s_or_b32 vcc_lo, vcc_lo, s5
	v_cndmask_b32_e64 v5, v5, v8, s3
	s_delay_alu instid0(VALU_DEP_1) | instskip(SKIP_1) | instid1(VALU_DEP_2)
	v_cndmask_b32_e32 v5, v5, v6, vcc_lo
	v_cmp_o_f32_e32 vcc_lo, v7, v7
	v_cndmask_b32_e32 v6, 0x7fc00000, v5, vcc_lo
.LBB6_8:
	s_load_b256 s[4:11], s[0:1], 0x0
	s_waitcnt lgkmcnt(0)
	s_cmp_lg_u64 s[8:9], 0
	s_cselect_b32 s1, -1, 0
	s_cmp_eq_u64 s[8:9], 0
	s_cbranch_scc1 .LBB6_12
; %bb.9:
	s_lshl_b64 s[26:27], s[14:15], 2
	s_delay_alu instid0(SALU_CYCLE_1)
	s_add_u32 s26, s8, s26
	s_addc_u32 s27, s9, s27
	s_load_b32 s0, s[26:27], 0x0
	s_branch .LBB6_13
.LBB6_10:
                                        ; implicit-def: $vgpr1_vgpr2
	s_branch .LBB6_2
.LBB6_11:
                                        ; implicit-def: $vgpr3_vgpr4
	s_branch .LBB6_5
.LBB6_12:
	s_mov_b32 s0, 0xff800000
.LBB6_13:
	s_mul_i32 s2, s25, s2
	v_dual_mov_b32 v8, 0 :: v_dual_lshlrev_b32 v5, 2, v0
	s_add_i32 s2, s2, s14
	s_delay_alu instid0(SALU_CYCLE_1) | instskip(NEXT) | instid1(SALU_CYCLE_1)
	s_mul_i32 s2, s2, s24
	s_add_i32 s2, s2, s13
	s_delay_alu instid0(SALU_CYCLE_1) | instskip(NEXT) | instid1(SALU_CYCLE_1)
	s_ashr_i32 s3, s2, 31
	s_lshl_b64 s[24:25], s[2:3], 12
	s_delay_alu instid0(SALU_CYCLE_1)
	s_add_u32 s4, s4, s24
	s_addc_u32 s5, s5, s25
	s_cmp_eq_u64 s[6:7], 0
	global_load_b32 v7, v5, s[4:5]
	s_cselect_b32 s4, -1, 0
	s_cmp_lg_u64 s[6:7], 0
	s_cbranch_scc0 .LBB6_15
; %bb.14:
	v_mul_lo_u32 v8, v1, s19
	v_mul_hi_u32 v9, v1, s18
	v_mul_lo_u32 v10, v3, s21
	v_mul_hi_u32 v11, v3, s20
	v_mul_lo_u32 v2, v2, s18
	v_mul_lo_u32 v1, v1, s18
	;; [unrolled: 1-line block ×4, first 2 shown]
	s_mul_i32 s5, s17, s13
	v_add_nc_u32_e32 v8, v9, v8
	s_mul_hi_u32 s12, s16, s13
	v_add_nc_u32_e32 v9, v11, v10
	s_mul_i32 s13, s16, s13
	s_add_i32 s12, s12, s5
	v_add_nc_u32_e32 v2, v8, v2
	v_add_co_u32 v1, vcc_lo, v1, s13
	v_add_nc_u32_e32 v4, v9, v4
	s_delay_alu instid0(VALU_DEP_3) | instskip(NEXT) | instid1(VALU_DEP_3)
	v_add_co_ci_u32_e32 v2, vcc_lo, s12, v2, vcc_lo
	v_add_co_u32 v1, vcc_lo, v1, v3
	v_lshlrev_b32_e32 v3, 1, v0
	s_delay_alu instid0(VALU_DEP_3) | instskip(NEXT) | instid1(VALU_DEP_1)
	v_add_co_ci_u32_e32 v2, vcc_lo, v2, v4, vcc_lo
	v_lshrrev_b64 v[1:2], 1, v[1:2]
	s_delay_alu instid0(VALU_DEP_1) | instskip(NEXT) | instid1(VALU_DEP_2)
	v_cndmask_b32_e64 v2, v2, 0, s4
	v_cndmask_b32_e64 v1, v1, 0, s4
	s_delay_alu instid0(VALU_DEP_1) | instskip(NEXT) | instid1(VALU_DEP_1)
	v_lshlrev_b64 v[1:2], 1, v[1:2]
	v_add_co_u32 v1, vcc_lo, s6, v1
	s_delay_alu instid0(VALU_DEP_2) | instskip(NEXT) | instid1(VALU_DEP_2)
	v_add_co_ci_u32_e32 v2, vcc_lo, s7, v2, vcc_lo
	v_readfirstlane_b32 s4, v1
	s_delay_alu instid0(VALU_DEP_2) | instskip(SKIP_3) | instid1(VALU_DEP_1)
	v_readfirstlane_b32 s5, v2
	global_load_u16 v1, v3, s[4:5]
	s_waitcnt vmcnt(0)
	v_cvt_f32_f16_e32 v1, v1
	v_mul_f32_e32 v8, v6, v1
.LBB6_15:
	v_mbcnt_lo_u32_b32 v1, -1, 0
	s_waitcnt lgkmcnt(0)
	v_max_f32_e64 v3, s0, s0
	s_delay_alu instid0(VALU_DEP_2) | instskip(SKIP_1) | instid1(VALU_DEP_2)
	v_xor_b32_e32 v2, 16, v1
	v_xor_b32_e32 v6, 8, v1
	v_cmp_gt_i32_e32 vcc_lo, 32, v2
	v_cndmask_b32_e32 v2, v1, v2, vcc_lo
	s_delay_alu instid0(VALU_DEP_3) | instskip(NEXT) | instid1(VALU_DEP_2)
	v_cmp_gt_i32_e32 vcc_lo, 32, v6
	v_lshlrev_b32_e32 v2, 2, v2
	v_cndmask_b32_e32 v6, v1, v6, vcc_lo
	s_waitcnt vmcnt(0)
	v_fmac_f32_e32 v8, s22, v7
	s_delay_alu instid0(VALU_DEP_1) | instskip(SKIP_3) | instid1(VALU_DEP_1)
	v_max_f32_e32 v4, v3, v8
	ds_bpermute_b32 v3, v2, v4
	s_waitcnt lgkmcnt(0)
	v_max_f32_e32 v7, v3, v3
	v_dual_max_f32 v6, v4, v7 :: v_dual_lshlrev_b32 v3, 2, v6
	v_xor_b32_e32 v7, 4, v1
	ds_bpermute_b32 v4, v3, v6
	v_cmp_gt_i32_e32 vcc_lo, 32, v7
	v_cndmask_b32_e32 v7, v1, v7, vcc_lo
	s_waitcnt lgkmcnt(0)
	s_delay_alu instid0(VALU_DEP_1) | instskip(NEXT) | instid1(VALU_DEP_1)
	v_dual_max_f32 v9, v4, v4 :: v_dual_lshlrev_b32 v4, 2, v7
	v_max_f32_e32 v7, v6, v9
	v_xor_b32_e32 v9, 2, v1
	ds_bpermute_b32 v6, v4, v7
	v_cmp_gt_i32_e32 vcc_lo, 32, v9
	s_waitcnt lgkmcnt(0)
	v_dual_cndmask_b32 v9, v1, v9 :: v_dual_max_f32 v10, v6, v6
	s_delay_alu instid0(VALU_DEP_1)
	v_dual_max_f32 v7, v7, v10 :: v_dual_lshlrev_b32 v6, 2, v9
	v_xor_b32_e32 v10, 1, v1
	ds_bpermute_b32 v9, v6, v7
	v_cmp_gt_i32_e32 vcc_lo, 32, v10
	s_waitcnt lgkmcnt(0)
	v_max_f32_e32 v9, v9, v9
	s_delay_alu instid0(VALU_DEP_1) | instskip(NEXT) | instid1(VALU_DEP_1)
	v_dual_cndmask_b32 v1, v1, v10 :: v_dual_max_f32 v10, v7, v9
	v_lshlrev_b32_e32 v7, 2, v1
	v_and_b32_e32 v9, 31, v0
	v_lshl_add_u32 v1, v0, 2, 0
	v_lshrrev_b32_e32 v0, 3, v0
	ds_bpermute_b32 v11, v7, v10
	v_cmp_eq_u32_e32 vcc_lo, 0, v9
	ds_store_b32 v1, v8 offset:128
	s_and_saveexec_b32 s0, vcc_lo
	s_delay_alu instid0(SALU_CYCLE_1)
	s_xor_b32 s0, exec_lo, s0
	s_cbranch_execz .LBB6_17
; %bb.16:
	s_waitcnt lgkmcnt(1)
	v_max_f32_e32 v8, v11, v11
	v_max_f32_e32 v10, v10, v10
	s_delay_alu instid0(VALU_DEP_1)
	v_max_f32_e32 v8, v10, v8
	v_add_nc_u32_e32 v10, 0, v0
	ds_store_b32 v10, v8
.LBB6_17:
	s_or_b32 exec_lo, exec_lo, s0
	v_lshl_add_u32 v8, v9, 2, 0
	s_waitcnt lgkmcnt(0)
	s_barrier
	buffer_gl0_inv
	ds_load_b32 v9, v8
	ds_load_b32 v10, v1 offset:128
	s_waitcnt lgkmcnt(1)
	ds_bpermute_b32 v11, v2, v9
	v_max_f32_e32 v9, v9, v9
	s_waitcnt lgkmcnt(0)
	v_max_f32_e32 v11, v11, v11
	s_delay_alu instid0(VALU_DEP_1) | instskip(SKIP_3) | instid1(VALU_DEP_1)
	v_max_f32_e32 v9, v9, v11
	ds_bpermute_b32 v11, v3, v9
	s_waitcnt lgkmcnt(0)
	v_max_f32_e32 v11, v11, v11
	v_max_f32_e32 v9, v9, v11
	ds_bpermute_b32 v11, v4, v9
	s_waitcnt lgkmcnt(0)
	v_max_f32_e32 v11, v11, v11
	s_delay_alu instid0(VALU_DEP_1) | instskip(SKIP_3) | instid1(VALU_DEP_1)
	v_max_f32_e32 v9, v9, v11
	ds_bpermute_b32 v11, v6, v9
	s_waitcnt lgkmcnt(0)
	v_max_f32_e32 v11, v11, v11
	v_max_f32_e32 v9, v9, v11
	ds_bpermute_b32 v11, v7, v9
	s_waitcnt lgkmcnt(0)
	v_max_f32_e32 v11, v11, v11
	s_delay_alu instid0(VALU_DEP_1) | instskip(NEXT) | instid1(VALU_DEP_1)
	v_max_f32_e32 v9, v9, v11
	v_sub_f32_e32 v10, v10, v9
	s_delay_alu instid0(VALU_DEP_1) | instskip(SKIP_1) | instid1(VALU_DEP_2)
	v_mul_f32_e32 v11, 0x3fb8aa3b, v10
	v_cmp_ngt_f32_e64 s0, 0xc2ce8ed0, v10
	v_fma_f32 v12, 0x3fb8aa3b, v10, -v11
	v_rndne_f32_e32 v13, v11
	s_delay_alu instid0(VALU_DEP_1) | instskip(NEXT) | instid1(VALU_DEP_1)
	v_dual_fmamk_f32 v12, v10, 0x32a5705f, v12 :: v_dual_sub_f32 v11, v11, v13
	v_add_f32_e32 v11, v11, v12
	v_cvt_i32_f32_e32 v12, v13
	s_delay_alu instid0(VALU_DEP_2) | instskip(SKIP_2) | instid1(VALU_DEP_1)
	v_exp_f32_e32 v11, v11
	s_waitcnt_depctr 0xfff
	v_ldexp_f32 v11, v11, v12
	v_cndmask_b32_e64 v11, 0, v11, s0
	v_cmp_nlt_f32_e64 s0, 0x42b17218, v10
	s_delay_alu instid0(VALU_DEP_1)
	v_cndmask_b32_e64 v12, 0x7f800000, v11, s0
	ds_bpermute_b32 v10, v2, v12
	ds_store_b32 v1, v12 offset:128
	s_waitcnt lgkmcnt(1)
	v_add_f32_e32 v10, v12, v10
	ds_bpermute_b32 v11, v3, v10
	s_waitcnt lgkmcnt(0)
	v_add_f32_e32 v10, v10, v11
	ds_bpermute_b32 v11, v4, v10
	;; [unrolled: 3-line block ×4, first 2 shown]
	s_and_saveexec_b32 s0, vcc_lo
	s_cbranch_execz .LBB6_19
; %bb.18:
	s_waitcnt lgkmcnt(0)
	v_add_f32_e32 v10, v10, v11
	v_add_nc_u32_e32 v0, 0, v0
	ds_store_b32 v0, v10
.LBB6_19:
	s_or_b32 exec_lo, exec_lo, s0
	s_waitcnt lgkmcnt(0)
	s_barrier
	buffer_gl0_inv
	ds_load_b32 v0, v8
	s_and_not1_b32 vcc_lo, exec_lo, s1
	s_lshl_b64 s[0:1], s[2:3], 10
	s_waitcnt lgkmcnt(0)
	ds_bpermute_b32 v2, v2, v0
	s_waitcnt lgkmcnt(0)
	v_add_f32_e32 v0, v0, v2
	ds_bpermute_b32 v2, v3, v0
	s_waitcnt lgkmcnt(0)
	v_add_f32_e32 v0, v0, v2
	;; [unrolled: 3-line block ×5, first 2 shown]
	s_cbranch_vccnz .LBB6_21
; %bb.20:
	s_lshl_b64 s[2:3], s[14:15], 2
	s_delay_alu instid0(SALU_CYCLE_1) | instskip(SKIP_4) | instid1(VALU_DEP_1)
	s_add_u32 s2, s8, s2
	s_addc_u32 s3, s9, s3
	s_load_b32 s2, s[2:3], 0x0
	s_waitcnt lgkmcnt(0)
	v_sub_f32_e32 v2, s2, v9
	v_mul_f32_e32 v3, 0x3fb8aa3b, v2
	s_delay_alu instid0(VALU_DEP_1) | instskip(SKIP_1) | instid1(VALU_DEP_1)
	v_fma_f32 v4, 0x3fb8aa3b, v2, -v3
	v_rndne_f32_e32 v6, v3
	v_sub_f32_e32 v3, v3, v6
	v_cmp_ngt_f32_e32 vcc_lo, 0xc2ce8ed0, v2
	s_delay_alu instid0(VALU_DEP_4) | instskip(NEXT) | instid1(VALU_DEP_1)
	v_fmamk_f32 v4, v2, 0x32a5705f, v4
	v_add_f32_e32 v3, v3, v4
	v_cvt_i32_f32_e32 v4, v6
	s_delay_alu instid0(VALU_DEP_2) | instskip(SKIP_2) | instid1(VALU_DEP_1)
	v_exp_f32_e32 v3, v3
	s_waitcnt_depctr 0xfff
	v_ldexp_f32 v3, v3, v4
	v_cndmask_b32_e32 v3, 0, v3, vcc_lo
	v_cmp_nlt_f32_e32 vcc_lo, 0x42b17218, v2
	s_delay_alu instid0(VALU_DEP_2) | instskip(NEXT) | instid1(VALU_DEP_1)
	v_cndmask_b32_e32 v2, 0x7f800000, v3, vcc_lo
	v_add_f32_e32 v0, v0, v2
.LBB6_21:
	s_delay_alu instid0(VALU_DEP_1) | instskip(SKIP_4) | instid1(SALU_CYCLE_1)
	v_div_scale_f32 v2, null, v0, v0, 1.0
	v_div_scale_f32 v6, vcc_lo, 1.0, v0, 1.0
	ds_load_b32 v1, v1 offset:128
	v_rcp_f32_e32 v3, v2
	s_lshl_b64 s[0:1], s[0:1], 2
	s_add_u32 s0, s10, s0
	s_addc_u32 s1, s11, s1
	s_waitcnt_depctr 0xfff
	v_fma_f32 v4, -v2, v3, 1.0
	s_delay_alu instid0(VALU_DEP_1) | instskip(NEXT) | instid1(VALU_DEP_1)
	v_fmac_f32_e32 v3, v4, v3
	v_mul_f32_e32 v4, v6, v3
	s_delay_alu instid0(VALU_DEP_1) | instskip(NEXT) | instid1(VALU_DEP_1)
	v_fma_f32 v7, -v2, v4, v6
	v_fmac_f32_e32 v4, v7, v3
	s_delay_alu instid0(VALU_DEP_1) | instskip(NEXT) | instid1(VALU_DEP_1)
	v_fma_f32 v2, -v2, v4, v6
	v_div_fmas_f32 v2, v2, v3, v4
	s_delay_alu instid0(VALU_DEP_1) | instskip(SKIP_1) | instid1(VALU_DEP_1)
	v_div_fixup_f32 v0, v2, v0, 1.0
	s_waitcnt lgkmcnt(0)
	v_mul_f32_e32 v0, v1, v0
	global_store_b32 v5, v0, s[0:1]
	s_nop 0
	s_sendmsg sendmsg(MSG_DEALLOC_VGPRS)
	s_endpgm
	.section	.rodata,"a",@progbits
	.p2align	6, 0x0
	.amdhsa_kernel _ZL12soft_max_f32ILb1ELi1024ELi1024E6__halfEvPKfPKT2_S2_Pf15soft_max_params
		.amdhsa_group_segment_fixed_size 0
		.amdhsa_private_segment_fixed_size 0
		.amdhsa_kernarg_size 416
		.amdhsa_user_sgpr_count 13
		.amdhsa_user_sgpr_dispatch_ptr 0
		.amdhsa_user_sgpr_queue_ptr 0
		.amdhsa_user_sgpr_kernarg_segment_ptr 1
		.amdhsa_user_sgpr_dispatch_id 0
		.amdhsa_user_sgpr_private_segment_size 0
		.amdhsa_wavefront_size32 1
		.amdhsa_uses_dynamic_stack 0
		.amdhsa_enable_private_segment 0
		.amdhsa_system_sgpr_workgroup_id_x 1
		.amdhsa_system_sgpr_workgroup_id_y 1
		.amdhsa_system_sgpr_workgroup_id_z 1
		.amdhsa_system_sgpr_workgroup_info 0
		.amdhsa_system_vgpr_workitem_id 0
		.amdhsa_next_free_vgpr 19
		.amdhsa_next_free_sgpr 28
		.amdhsa_reserve_vcc 1
		.amdhsa_float_round_mode_32 0
		.amdhsa_float_round_mode_16_64 0
		.amdhsa_float_denorm_mode_32 3
		.amdhsa_float_denorm_mode_16_64 3
		.amdhsa_dx10_clamp 1
		.amdhsa_ieee_mode 1
		.amdhsa_fp16_overflow 0
		.amdhsa_workgroup_processor_mode 1
		.amdhsa_memory_ordered 1
		.amdhsa_forward_progress 0
		.amdhsa_shared_vgpr_count 0
		.amdhsa_exception_fp_ieee_invalid_op 0
		.amdhsa_exception_fp_denorm_src 0
		.amdhsa_exception_fp_ieee_div_zero 0
		.amdhsa_exception_fp_ieee_overflow 0
		.amdhsa_exception_fp_ieee_underflow 0
		.amdhsa_exception_fp_ieee_inexact 0
		.amdhsa_exception_int_div_zero 0
	.end_amdhsa_kernel
	.section	.text._ZL12soft_max_f32ILb1ELi1024ELi1024E6__halfEvPKfPKT2_S2_Pf15soft_max_params,"axG",@progbits,_ZL12soft_max_f32ILb1ELi1024ELi1024E6__halfEvPKfPKT2_S2_Pf15soft_max_params,comdat
.Lfunc_end6:
	.size	_ZL12soft_max_f32ILb1ELi1024ELi1024E6__halfEvPKfPKT2_S2_Pf15soft_max_params, .Lfunc_end6-_ZL12soft_max_f32ILb1ELi1024ELi1024E6__halfEvPKfPKT2_S2_Pf15soft_max_params
                                        ; -- End function
	.section	.AMDGPU.csdata,"",@progbits
; Kernel info:
; codeLenInByte = 4260
; NumSgprs: 30
; NumVgprs: 19
; ScratchSize: 0
; MemoryBound: 0
; FloatMode: 240
; IeeeMode: 1
; LDSByteSize: 0 bytes/workgroup (compile time only)
; SGPRBlocks: 3
; VGPRBlocks: 2
; NumSGPRsForWavesPerEU: 30
; NumVGPRsForWavesPerEU: 19
; Occupancy: 16
; WaveLimiterHint : 1
; COMPUTE_PGM_RSRC2:SCRATCH_EN: 0
; COMPUTE_PGM_RSRC2:USER_SGPR: 13
; COMPUTE_PGM_RSRC2:TRAP_HANDLER: 0
; COMPUTE_PGM_RSRC2:TGID_X_EN: 1
; COMPUTE_PGM_RSRC2:TGID_Y_EN: 1
; COMPUTE_PGM_RSRC2:TGID_Z_EN: 1
; COMPUTE_PGM_RSRC2:TIDIG_COMP_CNT: 0
	.section	.text._ZL12soft_max_f32ILb1ELi512ELi512E6__halfEvPKfPKT2_S2_Pf15soft_max_params,"axG",@progbits,_ZL12soft_max_f32ILb1ELi512ELi512E6__halfEvPKfPKT2_S2_Pf15soft_max_params,comdat
	.globl	_ZL12soft_max_f32ILb1ELi512ELi512E6__halfEvPKfPKT2_S2_Pf15soft_max_params ; -- Begin function _ZL12soft_max_f32ILb1ELi512ELi512E6__halfEvPKfPKT2_S2_Pf15soft_max_params
	.p2align	8
	.type	_ZL12soft_max_f32ILb1ELi512ELi512E6__halfEvPKfPKT2_S2_Pf15soft_max_params,@function
_ZL12soft_max_f32ILb1ELi512ELi512E6__halfEvPKfPKT2_S2_Pf15soft_max_params: ; @_ZL12soft_max_f32ILb1ELi512ELi512E6__halfEvPKfPKT2_S2_Pf15soft_max_params
; %bb.0:
	s_clause 0x1
	s_load_b256 s[16:23], s[0:1], 0x68
	s_load_b64 s[4:5], s[0:1], 0x88
	s_mov_b32 s2, s15
	s_mov_b32 s15, 0
	s_delay_alu instid0(SALU_CYCLE_1) | instskip(SKIP_2) | instid1(SALU_CYCLE_1)
	s_mov_b32 s6, s15
	s_waitcnt lgkmcnt(0)
	s_mov_b32 s7, s23
	s_cmp_lg_u64 s[6:7], 0
	s_cbranch_scc0 .LBB7_10
; %bb.1:
	s_ashr_i32 s6, s23, 31
	s_delay_alu instid0(SALU_CYCLE_1) | instskip(SKIP_2) | instid1(SALU_CYCLE_1)
	s_add_u32 s8, s22, s6
	s_mov_b32 s7, s6
	s_addc_u32 s9, s23, s6
	s_xor_b64 s[6:7], s[8:9], s[6:7]
	s_delay_alu instid0(SALU_CYCLE_1) | instskip(SKIP_3) | instid1(VALU_DEP_1)
	v_cvt_f32_u32_e32 v1, s6
	v_cvt_f32_u32_e32 v2, s7
	s_sub_u32 s9, 0, s6
	s_subb_u32 s10, 0, s7
	v_fmamk_f32 v1, v2, 0x4f800000, v1
	s_delay_alu instid0(VALU_DEP_1) | instskip(SKIP_2) | instid1(VALU_DEP_1)
	v_rcp_f32_e32 v1, v1
	s_waitcnt_depctr 0xfff
	v_mul_f32_e32 v1, 0x5f7ffffc, v1
	v_mul_f32_e32 v2, 0x2f800000, v1
	s_delay_alu instid0(VALU_DEP_1) | instskip(NEXT) | instid1(VALU_DEP_1)
	v_trunc_f32_e32 v2, v2
	v_fmamk_f32 v1, v2, 0xcf800000, v1
	v_cvt_u32_f32_e32 v2, v2
	s_delay_alu instid0(VALU_DEP_2) | instskip(NEXT) | instid1(VALU_DEP_2)
	v_cvt_u32_f32_e32 v1, v1
	v_readfirstlane_b32 s3, v2
	s_delay_alu instid0(VALU_DEP_2) | instskip(NEXT) | instid1(VALU_DEP_2)
	v_readfirstlane_b32 s8, v1
	s_mul_i32 s11, s9, s3
	s_delay_alu instid0(VALU_DEP_1)
	s_mul_hi_u32 s23, s9, s8
	s_mul_i32 s12, s10, s8
	s_add_i32 s11, s23, s11
	s_mul_i32 s24, s9, s8
	s_add_i32 s11, s11, s12
	s_mul_hi_u32 s23, s8, s24
	s_mul_hi_u32 s25, s3, s24
	s_mul_i32 s12, s3, s24
	s_mul_hi_u32 s24, s8, s11
	s_mul_i32 s8, s8, s11
	s_mul_hi_u32 s26, s3, s11
	s_add_u32 s8, s23, s8
	s_addc_u32 s23, 0, s24
	s_add_u32 s8, s8, s12
	s_mul_i32 s11, s3, s11
	s_addc_u32 s8, s23, s25
	s_addc_u32 s12, s26, 0
	s_add_u32 s8, s8, s11
	s_addc_u32 s11, 0, s12
	v_add_co_u32 v1, s8, v1, s8
	s_delay_alu instid0(VALU_DEP_1) | instskip(SKIP_1) | instid1(VALU_DEP_1)
	s_cmp_lg_u32 s8, 0
	s_addc_u32 s3, s3, s11
	v_readfirstlane_b32 s8, v1
	s_mul_i32 s11, s9, s3
	s_delay_alu instid0(VALU_DEP_1)
	s_mul_hi_u32 s12, s9, s8
	s_mul_i32 s10, s10, s8
	s_add_i32 s11, s12, s11
	s_mul_i32 s9, s9, s8
	s_add_i32 s11, s11, s10
	s_mul_hi_u32 s12, s3, s9
	s_mul_i32 s23, s3, s9
	s_mul_hi_u32 s9, s8, s9
	s_mul_hi_u32 s24, s8, s11
	s_mul_i32 s8, s8, s11
	s_mul_hi_u32 s10, s3, s11
	s_add_u32 s8, s9, s8
	s_addc_u32 s9, 0, s24
	s_add_u32 s8, s8, s23
	s_mul_i32 s11, s3, s11
	s_addc_u32 s8, s9, s12
	s_addc_u32 s9, s10, 0
	s_add_u32 s8, s8, s11
	s_addc_u32 s9, 0, s9
	v_add_co_u32 v1, s8, v1, s8
	s_delay_alu instid0(VALU_DEP_1) | instskip(SKIP_1) | instid1(VALU_DEP_1)
	s_cmp_lg_u32 s8, 0
	s_addc_u32 s3, s3, s9
	v_readfirstlane_b32 s8, v1
	s_mul_i32 s9, s14, s3
	s_mul_hi_u32 s3, s14, s3
	s_delay_alu instid0(VALU_DEP_1) | instskip(NEXT) | instid1(SALU_CYCLE_1)
	s_mul_hi_u32 s8, s14, s8
	s_add_u32 s8, s8, s9
	s_addc_u32 s3, 0, s3
	s_add_u32 s8, s8, 0
	s_addc_u32 s3, s3, 0
	s_addc_u32 s8, 0, 0
	s_add_u32 s3, s3, 0
	s_addc_u32 s8, 0, s8
	s_mul_hi_u32 s9, s6, s3
	s_mul_i32 s8, s6, s8
	s_mul_i32 s10, s7, s3
	;; [unrolled: 1-line block ×3, first 2 shown]
	s_add_i32 s8, s9, s8
	v_sub_co_u32 v1, s3, s14, s3
	s_add_i32 s8, s8, s10
	s_delay_alu instid0(SALU_CYCLE_1) | instskip(SKIP_1) | instid1(VALU_DEP_1)
	s_sub_i32 s9, 0, s8
	s_cmp_lg_u32 s3, 0
	v_sub_co_u32 v2, s10, v1, s6
	s_subb_u32 s9, s9, s7
	s_cmp_lg_u32 s10, 0
	s_subb_u32 s11, s9, 0
	s_delay_alu instid0(VALU_DEP_1)
	v_cmp_le_u32_e32 vcc_lo, s6, v2
	s_cmp_ge_u32 s11, s7
	s_cselect_b32 s12, -1, 0
	s_cmp_eq_u32 s11, s7
	v_cndmask_b32_e64 v3, 0, -1, vcc_lo
	s_cselect_b32 vcc_lo, -1, 0
	s_cmp_lg_u32 s10, 0
	v_sub_co_u32 v4, s10, v2, s6
	s_subb_u32 s9, s9, s7
	s_cmp_lg_u32 s10, 0
	v_cndmask_b32_e32 v3, s12, v3, vcc_lo
	s_subb_u32 s9, s9, 0
	s_cmp_lg_u32 s3, 0
	v_cmp_le_u32_e32 vcc_lo, s6, v1
	s_subb_u32 s8, 0, s8
	s_delay_alu instid0(SALU_CYCLE_1)
	s_cmp_ge_u32 s8, s7
	v_cndmask_b32_e64 v5, 0, -1, vcc_lo
	s_cselect_b32 s6, -1, 0
	s_cmp_eq_u32 s8, s7
	v_cmp_ne_u32_e32 vcc_lo, 0, v3
	v_mov_b32_e32 v3, s9
	s_cselect_b32 s3, -1, 0
	s_delay_alu instid0(SALU_CYCLE_1) | instskip(SKIP_1) | instid1(VALU_DEP_3)
	v_cndmask_b32_e64 v5, s6, v5, s3
	v_cndmask_b32_e32 v2, v2, v4, vcc_lo
	v_cndmask_b32_e32 v3, s11, v3, vcc_lo
	s_mov_b32 s3, s15
	s_delay_alu instid0(VALU_DEP_3) | instskip(NEXT) | instid1(VALU_DEP_3)
	v_cmp_ne_u32_e32 vcc_lo, 0, v5
	v_cndmask_b32_e32 v1, v1, v2, vcc_lo
	s_delay_alu instid0(VALU_DEP_3) | instskip(NEXT) | instid1(VALU_DEP_2)
	v_cndmask_b32_e32 v3, s8, v3, vcc_lo
	v_sub_co_u32 v1, vcc_lo, v1, 0
	s_delay_alu instid0(VALU_DEP_2)
	v_subrev_co_ci_u32_e32 v2, vcc_lo, 0, v3, vcc_lo
	s_and_not1_b32 vcc_lo, exec_lo, s3
	s_cbranch_vccnz .LBB7_3
.LBB7_2:
	v_cvt_f32_u32_e32 v1, s22
	s_mov_b32 s7, 0
	s_sub_i32 s6, 0, s22
	s_delay_alu instid0(VALU_DEP_1) | instskip(SKIP_2) | instid1(VALU_DEP_1)
	v_rcp_iflag_f32_e32 v1, v1
	s_waitcnt_depctr 0xfff
	v_mul_f32_e32 v1, 0x4f7ffffe, v1
	v_cvt_u32_f32_e32 v1, v1
	s_delay_alu instid0(VALU_DEP_1) | instskip(NEXT) | instid1(VALU_DEP_1)
	v_readfirstlane_b32 s3, v1
	s_mul_i32 s6, s6, s3
	s_delay_alu instid0(SALU_CYCLE_1) | instskip(NEXT) | instid1(SALU_CYCLE_1)
	s_mul_hi_u32 s6, s3, s6
	s_add_i32 s3, s3, s6
	s_delay_alu instid0(SALU_CYCLE_1) | instskip(NEXT) | instid1(SALU_CYCLE_1)
	s_mul_hi_u32 s3, s14, s3
	s_mul_i32 s3, s3, s22
	s_delay_alu instid0(SALU_CYCLE_1) | instskip(NEXT) | instid1(SALU_CYCLE_1)
	s_sub_i32 s3, s14, s3
	s_sub_i32 s6, s3, s22
	s_cmp_ge_u32 s3, s22
	s_cselect_b32 s3, s6, s3
	s_delay_alu instid0(SALU_CYCLE_1) | instskip(SKIP_2) | instid1(SALU_CYCLE_1)
	s_sub_i32 s6, s3, s22
	s_cmp_ge_u32 s3, s22
	s_cselect_b32 s6, s6, s3
	v_dual_mov_b32 v1, s6 :: v_dual_mov_b32 v2, s7
.LBB7_3:
	s_load_b64 s[22:23], s[0:1], 0x90
	s_mov_b32 s6, 0
	s_mov_b32 s7, s5
	s_delay_alu instid0(SALU_CYCLE_1)
	s_cmp_lg_u64 s[6:7], 0
	s_cbranch_scc0 .LBB7_11
; %bb.4:
	s_ashr_i32 s8, s5, 31
	s_delay_alu instid0(SALU_CYCLE_1) | instskip(SKIP_2) | instid1(SALU_CYCLE_1)
	s_add_u32 s10, s4, s8
	s_mov_b32 s9, s8
	s_addc_u32 s11, s5, s8
	s_xor_b64 s[8:9], s[10:11], s[8:9]
	s_delay_alu instid0(SALU_CYCLE_1) | instskip(SKIP_3) | instid1(VALU_DEP_1)
	v_cvt_f32_u32_e32 v3, s8
	v_cvt_f32_u32_e32 v4, s9
	s_sub_u32 s7, 0, s8
	s_subb_u32 s10, 0, s9
	v_fmamk_f32 v3, v4, 0x4f800000, v3
	s_delay_alu instid0(VALU_DEP_1) | instskip(SKIP_2) | instid1(VALU_DEP_1)
	v_rcp_f32_e32 v3, v3
	s_waitcnt_depctr 0xfff
	v_mul_f32_e32 v3, 0x5f7ffffc, v3
	v_mul_f32_e32 v4, 0x2f800000, v3
	s_delay_alu instid0(VALU_DEP_1) | instskip(NEXT) | instid1(VALU_DEP_1)
	v_trunc_f32_e32 v4, v4
	v_fmamk_f32 v3, v4, 0xcf800000, v3
	v_cvt_u32_f32_e32 v4, v4
	s_delay_alu instid0(VALU_DEP_2) | instskip(NEXT) | instid1(VALU_DEP_2)
	v_cvt_u32_f32_e32 v3, v3
	v_readfirstlane_b32 s3, v4
	s_delay_alu instid0(VALU_DEP_2) | instskip(NEXT) | instid1(VALU_DEP_2)
	v_readfirstlane_b32 s5, v3
	s_mul_i32 s11, s7, s3
	s_delay_alu instid0(VALU_DEP_1)
	s_mul_hi_u32 s24, s7, s5
	s_mul_i32 s12, s10, s5
	s_add_i32 s11, s24, s11
	s_mul_i32 s25, s7, s5
	s_add_i32 s11, s11, s12
	s_mul_hi_u32 s24, s5, s25
	s_mul_hi_u32 s26, s3, s25
	s_mul_i32 s12, s3, s25
	s_mul_hi_u32 s25, s5, s11
	s_mul_i32 s5, s5, s11
	s_mul_hi_u32 s27, s3, s11
	s_add_u32 s5, s24, s5
	s_addc_u32 s24, 0, s25
	s_add_u32 s5, s5, s12
	s_mul_i32 s11, s3, s11
	s_addc_u32 s5, s24, s26
	s_addc_u32 s12, s27, 0
	s_add_u32 s5, s5, s11
	s_addc_u32 s11, 0, s12
	v_add_co_u32 v3, s5, v3, s5
	s_delay_alu instid0(VALU_DEP_1) | instskip(SKIP_1) | instid1(VALU_DEP_1)
	s_cmp_lg_u32 s5, 0
	s_addc_u32 s3, s3, s11
	v_readfirstlane_b32 s5, v3
	s_mul_i32 s11, s7, s3
	s_delay_alu instid0(VALU_DEP_1)
	s_mul_hi_u32 s12, s7, s5
	s_mul_i32 s10, s10, s5
	s_add_i32 s11, s12, s11
	s_mul_i32 s7, s7, s5
	s_add_i32 s11, s11, s10
	s_mul_hi_u32 s12, s3, s7
	s_mul_i32 s24, s3, s7
	s_mul_hi_u32 s7, s5, s7
	s_mul_hi_u32 s25, s5, s11
	s_mul_i32 s5, s5, s11
	s_mul_hi_u32 s10, s3, s11
	s_add_u32 s5, s7, s5
	s_addc_u32 s7, 0, s25
	s_add_u32 s5, s5, s24
	s_mul_i32 s11, s3, s11
	s_addc_u32 s5, s7, s12
	s_addc_u32 s7, s10, 0
	s_add_u32 s5, s5, s11
	s_addc_u32 s7, 0, s7
	v_add_co_u32 v3, s5, v3, s5
	s_delay_alu instid0(VALU_DEP_1) | instskip(SKIP_1) | instid1(VALU_DEP_1)
	s_cmp_lg_u32 s5, 0
	s_addc_u32 s3, s3, s7
	v_readfirstlane_b32 s5, v3
	s_mul_i32 s7, s2, s3
	s_mul_hi_u32 s3, s2, s3
	s_delay_alu instid0(VALU_DEP_1) | instskip(NEXT) | instid1(SALU_CYCLE_1)
	s_mul_hi_u32 s5, s2, s5
	s_add_u32 s5, s5, s7
	s_addc_u32 s3, 0, s3
	s_add_u32 s5, s5, 0
	s_addc_u32 s3, s3, 0
	s_addc_u32 s5, 0, 0
	s_add_u32 s3, s3, 0
	s_addc_u32 s5, 0, s5
	s_mul_hi_u32 s7, s8, s3
	s_mul_i32 s5, s8, s5
	s_mul_i32 s10, s9, s3
	;; [unrolled: 1-line block ×3, first 2 shown]
	s_add_i32 s5, s7, s5
	v_sub_co_u32 v3, s3, s2, s3
	s_add_i32 s5, s5, s10
	s_delay_alu instid0(SALU_CYCLE_1) | instskip(SKIP_1) | instid1(VALU_DEP_1)
	s_sub_i32 s7, 0, s5
	s_cmp_lg_u32 s3, 0
	v_sub_co_u32 v4, s10, v3, s8
	s_subb_u32 s7, s7, s9
	s_cmp_lg_u32 s10, 0
	s_subb_u32 s11, s7, 0
	s_delay_alu instid0(VALU_DEP_1)
	v_cmp_le_u32_e32 vcc_lo, s8, v4
	s_cmp_ge_u32 s11, s9
	s_cselect_b32 s12, -1, 0
	s_cmp_eq_u32 s11, s9
	v_cndmask_b32_e64 v5, 0, -1, vcc_lo
	s_cselect_b32 vcc_lo, -1, 0
	s_cmp_lg_u32 s10, 0
	v_sub_co_u32 v6, s10, v4, s8
	s_subb_u32 s7, s7, s9
	s_cmp_lg_u32 s10, 0
	v_cndmask_b32_e32 v5, s12, v5, vcc_lo
	s_subb_u32 s7, s7, 0
	s_cmp_lg_u32 s3, 0
	v_cmp_le_u32_e32 vcc_lo, s8, v3
	s_subb_u32 s5, 0, s5
	s_delay_alu instid0(SALU_CYCLE_1)
	s_cmp_ge_u32 s5, s9
	v_cndmask_b32_e64 v7, 0, -1, vcc_lo
	s_cselect_b32 s8, -1, 0
	s_cmp_eq_u32 s5, s9
	v_cmp_ne_u32_e32 vcc_lo, 0, v5
	v_mov_b32_e32 v5, s7
	s_cselect_b32 s3, -1, 0
	s_delay_alu instid0(SALU_CYCLE_1) | instskip(SKIP_1) | instid1(VALU_DEP_3)
	v_cndmask_b32_e64 v7, s8, v7, s3
	v_cndmask_b32_e32 v4, v4, v6, vcc_lo
	v_cndmask_b32_e32 v5, s11, v5, vcc_lo
	s_delay_alu instid0(VALU_DEP_3) | instskip(NEXT) | instid1(VALU_DEP_3)
	v_cmp_ne_u32_e32 vcc_lo, 0, v7
	v_cndmask_b32_e32 v3, v3, v4, vcc_lo
	s_delay_alu instid0(VALU_DEP_3) | instskip(NEXT) | instid1(VALU_DEP_2)
	v_cndmask_b32_e32 v5, s5, v5, vcc_lo
	v_sub_co_u32 v3, vcc_lo, v3, 0
	s_delay_alu instid0(VALU_DEP_2)
	v_subrev_co_ci_u32_e32 v4, vcc_lo, 0, v5, vcc_lo
	s_and_not1_b32 vcc_lo, exec_lo, s6
	s_cbranch_vccnz .LBB7_6
.LBB7_5:
	v_cvt_f32_u32_e32 v3, s4
	s_sub_i32 s5, 0, s4
	s_delay_alu instid0(VALU_DEP_1) | instskip(SKIP_2) | instid1(VALU_DEP_1)
	v_rcp_iflag_f32_e32 v3, v3
	s_waitcnt_depctr 0xfff
	v_mul_f32_e32 v3, 0x4f7ffffe, v3
	v_cvt_u32_f32_e32 v3, v3
	s_delay_alu instid0(VALU_DEP_1) | instskip(NEXT) | instid1(VALU_DEP_1)
	v_readfirstlane_b32 s3, v3
	s_mul_i32 s5, s5, s3
	s_delay_alu instid0(SALU_CYCLE_1) | instskip(NEXT) | instid1(SALU_CYCLE_1)
	s_mul_hi_u32 s5, s3, s5
	s_add_i32 s3, s3, s5
	s_delay_alu instid0(SALU_CYCLE_1) | instskip(NEXT) | instid1(SALU_CYCLE_1)
	s_mul_hi_u32 s3, s2, s3
	s_mul_i32 s3, s3, s4
	s_delay_alu instid0(SALU_CYCLE_1) | instskip(NEXT) | instid1(SALU_CYCLE_1)
	s_sub_i32 s3, s2, s3
	s_sub_i32 s5, s3, s4
	s_cmp_ge_u32 s3, s4
	s_cselect_b32 s3, s5, s3
	s_mov_b32 s5, 0
	s_sub_i32 s6, s3, s4
	s_cmp_ge_u32 s3, s4
	s_cselect_b32 s4, s6, s3
	s_delay_alu instid0(SALU_CYCLE_1)
	v_dual_mov_b32 v3, s4 :: v_dual_mov_b32 v4, s5
.LBB7_6:
	s_load_b64 s[24:25], s[0:1], 0xa0
	s_waitcnt lgkmcnt(0)
	v_cmp_le_f32_e64 s3, s23, 0
	v_mov_b32_e32 v6, 1.0
	s_delay_alu instid0(VALU_DEP_2)
	s_and_b32 vcc_lo, exec_lo, s3
	s_cbranch_vccnz .LBB7_8
; %bb.7:
	s_clause 0x1
	s_load_b32 s3, s[0:1], 0x28
	s_load_b64 s[4:5], s[0:1], 0x98
	s_add_i32 s7, s14, 1
	s_waitcnt lgkmcnt(0)
	s_sub_i32 s6, s14, s3
	v_mov_b32_e32 v5, s4
	s_lshl_b32 s6, s6, 1
	s_delay_alu instid0(SALU_CYCLE_1)
	s_or_b32 s4, s6, 1
	s_cmp_lt_u32 s14, s3
	s_cselect_b32 vcc_lo, -1, 0
	v_cndmask_b32_e32 v7, s5, v5, vcc_lo
	s_and_b32 s3, vcc_lo, exec_lo
	s_cselect_b32 s3, s7, s4
	s_mov_b32 s4, 0x3e76c4e1
	v_cvt_f32_i32_e32 v5, s3
	v_cmp_neq_f32_e32 vcc_lo, 1.0, v7
	s_delay_alu instid0(VALU_DEP_2) | instskip(NEXT) | instid1(VALU_DEP_1)
	v_cndmask_b32_e32 v8, 1.0, v5, vcc_lo
	v_cmp_eq_f32_e32 vcc_lo, 0, v8
	v_cndmask_b32_e64 v9, |v7|, 1.0, vcc_lo
	s_delay_alu instid0(VALU_DEP_1) | instskip(NEXT) | instid1(VALU_DEP_1)
	v_frexp_mant_f32_e32 v5, v9
	v_cmp_gt_f32_e64 s3, 0x3f2aaaab, v5
	s_delay_alu instid0(VALU_DEP_1) | instskip(NEXT) | instid1(VALU_DEP_1)
	v_cndmask_b32_e64 v6, 1.0, 2.0, s3
	v_mul_f32_e32 v5, v5, v6
	s_delay_alu instid0(VALU_DEP_1) | instskip(SKIP_1) | instid1(VALU_DEP_2)
	v_add_f32_e32 v6, 1.0, v5
	v_add_f32_e32 v11, -1.0, v5
	v_rcp_f32_e32 v10, v6
	s_waitcnt_depctr 0xfff
	v_mul_f32_e32 v12, v11, v10
	s_delay_alu instid0(VALU_DEP_1) | instskip(NEXT) | instid1(VALU_DEP_1)
	v_dual_add_f32 v13, -1.0, v6 :: v_dual_mul_f32 v14, v6, v12
	v_sub_f32_e32 v5, v5, v13
	v_cndmask_b32_e64 v7, v7, 1.0, vcc_lo
	s_delay_alu instid0(VALU_DEP_3) | instskip(NEXT) | instid1(VALU_DEP_2)
	v_fma_f32 v6, v12, v6, -v14
	v_cmp_eq_f32_e64 s5, 0, v7
	s_delay_alu instid0(VALU_DEP_2) | instskip(NEXT) | instid1(VALU_DEP_1)
	v_fmac_f32_e32 v6, v12, v5
	v_add_f32_e32 v5, v14, v6
	s_delay_alu instid0(VALU_DEP_1) | instskip(NEXT) | instid1(VALU_DEP_1)
	v_dual_sub_f32 v14, v5, v14 :: v_dual_sub_f32 v13, v11, v5
	v_dual_sub_f32 v6, v14, v6 :: v_dual_sub_f32 v11, v11, v13
	s_delay_alu instid0(VALU_DEP_1) | instskip(NEXT) | instid1(VALU_DEP_1)
	v_sub_f32_e32 v5, v11, v5
	v_add_f32_e32 v5, v6, v5
	s_delay_alu instid0(VALU_DEP_1) | instskip(NEXT) | instid1(VALU_DEP_1)
	v_add_f32_e32 v5, v13, v5
	v_mul_f32_e32 v5, v10, v5
	s_delay_alu instid0(VALU_DEP_1) | instskip(NEXT) | instid1(VALU_DEP_1)
	v_add_f32_e32 v10, v12, v5
	v_sub_f32_e32 v6, v10, v12
	v_mul_f32_e32 v11, v10, v10
	s_delay_alu instid0(VALU_DEP_2) | instskip(NEXT) | instid1(VALU_DEP_2)
	v_sub_f32_e32 v12, v5, v6
	v_fma_f32 v13, v10, v10, -v11
	s_delay_alu instid0(VALU_DEP_2) | instskip(NEXT) | instid1(VALU_DEP_1)
	v_add_f32_e32 v5, v12, v12
	v_fmac_f32_e32 v13, v10, v5
	v_cvt_f64_f32_e32 v[5:6], v9
	s_delay_alu instid0(VALU_DEP_2) | instskip(NEXT) | instid1(VALU_DEP_1)
	v_add_f32_e32 v14, v11, v13
	v_fmaak_f32 v15, s4, v14, 0x3e91f4c4
	v_sub_f32_e32 v11, v14, v11
	v_mul_f32_e32 v18, v10, v14
	s_delay_alu instid0(VALU_DEP_3) | instskip(NEXT) | instid1(VALU_DEP_3)
	v_fmaak_f32 v15, v14, v15, 0x3ecccdef
	v_sub_f32_e32 v11, v13, v11
	s_delay_alu instid0(VALU_DEP_2) | instskip(NEXT) | instid1(VALU_DEP_1)
	v_mul_f32_e32 v16, v14, v15
	v_fma_f32 v13, v14, v15, -v16
	s_delay_alu instid0(VALU_DEP_1) | instskip(NEXT) | instid1(VALU_DEP_1)
	v_fmac_f32_e32 v13, v11, v15
	v_add_f32_e32 v15, v16, v13
	v_frexp_exp_i32_f64_e32 v5, v[5:6]
	s_delay_alu instid0(VALU_DEP_2) | instskip(NEXT) | instid1(VALU_DEP_1)
	v_sub_f32_e32 v16, v15, v16
	v_sub_f32_e32 v6, v13, v16
	v_fma_f32 v16, v14, v10, -v18
	s_delay_alu instid0(VALU_DEP_2) | instskip(NEXT) | instid1(VALU_DEP_2)
	v_add_f32_e32 v6, 0x31739010, v6
	v_dual_add_f32 v17, 0x3f2aaaaa, v15 :: v_dual_fmac_f32 v16, v14, v12
	v_ldexp_f32 v12, v12, 1
	s_delay_alu instid0(VALU_DEP_2) | instskip(NEXT) | instid1(VALU_DEP_1)
	v_dual_add_f32 v13, 0xbf2aaaaa, v17 :: v_dual_fmac_f32 v16, v11, v10
	v_sub_f32_e32 v13, v15, v13
	s_delay_alu instid0(VALU_DEP_1) | instskip(NEXT) | instid1(VALU_DEP_3)
	v_add_f32_e32 v6, v6, v13
	v_add_f32_e32 v13, v18, v16
	s_delay_alu instid0(VALU_DEP_2) | instskip(NEXT) | instid1(VALU_DEP_1)
	v_add_f32_e32 v11, v17, v6
	v_sub_f32_e32 v14, v17, v11
	s_delay_alu instid0(VALU_DEP_3) | instskip(SKIP_2) | instid1(VALU_DEP_4)
	v_mul_f32_e32 v15, v13, v11
	v_sub_f32_e32 v17, v13, v18
	v_subrev_co_ci_u32_e64 v5, s3, 0, v5, s3
	v_add_f32_e32 v6, v6, v14
	s_delay_alu instid0(VALU_DEP_4) | instskip(NEXT) | instid1(VALU_DEP_4)
	v_fma_f32 v14, v13, v11, -v15
	v_sub_f32_e32 v16, v16, v17
	s_delay_alu instid0(VALU_DEP_4) | instskip(NEXT) | instid1(VALU_DEP_3)
	v_cvt_f32_i32_e32 v5, v5
	v_fmac_f32_e32 v14, v13, v6
	v_ldexp_f32 v6, v10, 1
	s_delay_alu instid0(VALU_DEP_2) | instskip(NEXT) | instid1(VALU_DEP_1)
	v_fmac_f32_e32 v14, v16, v11
	v_add_f32_e32 v10, v15, v14
	s_delay_alu instid0(VALU_DEP_1) | instskip(NEXT) | instid1(VALU_DEP_1)
	v_add_f32_e32 v11, v6, v10
	v_dual_sub_f32 v6, v11, v6 :: v_dual_sub_f32 v13, v10, v15
	s_delay_alu instid0(VALU_DEP_1) | instskip(NEXT) | instid1(VALU_DEP_2)
	v_sub_f32_e32 v6, v10, v6
	v_sub_f32_e32 v13, v14, v13
	s_delay_alu instid0(VALU_DEP_1) | instskip(NEXT) | instid1(VALU_DEP_1)
	v_add_f32_e32 v10, v12, v13
	v_dual_mul_f32 v15, 0x3f317218, v5 :: v_dual_add_f32 v6, v10, v6
	s_delay_alu instid0(VALU_DEP_1) | instskip(NEXT) | instid1(VALU_DEP_2)
	v_fma_f32 v14, 0x3f317218, v5, -v15
	v_add_f32_e32 v12, v11, v6
	s_delay_alu instid0(VALU_DEP_1) | instskip(NEXT) | instid1(VALU_DEP_1)
	v_sub_f32_e32 v11, v12, v11
	v_dual_fmamk_f32 v5, v5, 0xb102e308, v14 :: v_dual_sub_f32 v6, v6, v11
	s_delay_alu instid0(VALU_DEP_1) | instskip(NEXT) | instid1(VALU_DEP_1)
	v_add_f32_e32 v10, v15, v5
	v_add_f32_e32 v13, v10, v12
	s_delay_alu instid0(VALU_DEP_1) | instskip(NEXT) | instid1(VALU_DEP_1)
	v_dual_sub_f32 v15, v10, v15 :: v_dual_sub_f32 v14, v13, v10
	v_sub_f32_e32 v16, v13, v14
	s_delay_alu instid0(VALU_DEP_2) | instskip(NEXT) | instid1(VALU_DEP_2)
	v_sub_f32_e32 v5, v5, v15
	v_dual_sub_f32 v11, v12, v14 :: v_dual_sub_f32 v10, v10, v16
	s_delay_alu instid0(VALU_DEP_2) | instskip(NEXT) | instid1(VALU_DEP_2)
	v_add_f32_e32 v12, v5, v6
	v_add_f32_e32 v10, v11, v10
	s_delay_alu instid0(VALU_DEP_1) | instskip(NEXT) | instid1(VALU_DEP_1)
	v_add_f32_e32 v10, v12, v10
	v_dual_sub_f32 v11, v12, v5 :: v_dual_add_f32 v14, v13, v10
	s_delay_alu instid0(VALU_DEP_1) | instskip(SKIP_1) | instid1(VALU_DEP_3)
	v_sub_f32_e32 v12, v12, v11
	v_sub_f32_e32 v6, v6, v11
	;; [unrolled: 1-line block ×3, first 2 shown]
	s_delay_alu instid0(VALU_DEP_3) | instskip(NEXT) | instid1(VALU_DEP_1)
	v_sub_f32_e32 v5, v5, v12
	v_add_f32_e32 v5, v6, v5
	s_delay_alu instid0(VALU_DEP_3) | instskip(NEXT) | instid1(VALU_DEP_1)
	v_sub_f32_e32 v6, v10, v11
	v_add_f32_e32 v5, v5, v6
	s_delay_alu instid0(VALU_DEP_1) | instskip(NEXT) | instid1(VALU_DEP_1)
	v_add_f32_e32 v6, v14, v5
	v_mul_f32_e32 v11, v8, v6
	v_sub_f32_e32 v10, v6, v14
	s_delay_alu instid0(VALU_DEP_2) | instskip(NEXT) | instid1(VALU_DEP_2)
	v_fma_f32 v6, v8, v6, -v11
	v_sub_f32_e32 v5, v5, v10
	v_cmp_class_f32_e64 s3, v11, 0x204
	s_delay_alu instid0(VALU_DEP_2) | instskip(NEXT) | instid1(VALU_DEP_1)
	v_fmac_f32_e32 v6, v8, v5
	v_add_f32_e32 v5, v11, v6
	s_delay_alu instid0(VALU_DEP_1) | instskip(NEXT) | instid1(VALU_DEP_1)
	v_cndmask_b32_e64 v10, v5, v11, s3
	v_cmp_eq_f32_e64 s3, 0x42b17218, v10
	s_delay_alu instid0(VALU_DEP_1) | instskip(SKIP_1) | instid1(VALU_DEP_2)
	v_cndmask_b32_e64 v12, 0, 0x37000000, s3
	v_cmp_neq_f32_e64 s3, 0x7f800000, |v10|
	v_sub_f32_e32 v13, v10, v12
	v_trunc_f32_e32 v10, v8
	s_delay_alu instid0(VALU_DEP_2) | instskip(NEXT) | instid1(VALU_DEP_1)
	v_mul_f32_e32 v14, 0x3fb8aa3b, v13
	v_fma_f32 v15, 0x3fb8aa3b, v13, -v14
	v_rndne_f32_e32 v16, v14
	s_delay_alu instid0(VALU_DEP_1) | instskip(NEXT) | instid1(VALU_DEP_1)
	v_dual_fmamk_f32 v15, v13, 0x32a5705f, v15 :: v_dual_sub_f32 v14, v14, v16
	v_add_f32_e32 v14, v14, v15
	v_sub_f32_e32 v5, v5, v11
	v_cvt_i32_f32_e32 v11, v16
	s_delay_alu instid0(VALU_DEP_3) | instskip(NEXT) | instid1(VALU_DEP_2)
	v_exp_f32_e32 v14, v14
	v_sub_f32_e32 v5, v6, v5
	s_delay_alu instid0(VALU_DEP_1)
	v_cndmask_b32_e64 v5, 0, v5, s3
	v_cmp_ngt_f32_e64 s3, 0xc2ce8ed0, v13
	s_waitcnt_depctr 0xfff
	v_ldexp_f32 v6, v14, v11
	v_mul_f32_e32 v11, 0.5, v8
	v_add_f32_e32 v5, v12, v5
	s_delay_alu instid0(VALU_DEP_3) | instskip(NEXT) | instid1(VALU_DEP_3)
	v_cndmask_b32_e64 v6, 0, v6, s3
	v_trunc_f32_e32 v14, v11
	v_cmp_nlt_f32_e64 s3, 0x42b17218, v13
	s_delay_alu instid0(VALU_DEP_2) | instskip(NEXT) | instid1(VALU_DEP_2)
	v_cmp_neq_f32_e64 s4, v14, v11
	v_cndmask_b32_e64 v6, 0x7f800000, v6, s3
	v_cmp_eq_f32_e64 s3, v10, v8
	s_delay_alu instid0(VALU_DEP_2) | instskip(NEXT) | instid1(VALU_DEP_2)
	v_fma_f32 v5, v6, v5, v6
	s_and_b32 vcc_lo, s3, s4
	v_cmp_class_f32_e64 s4, v6, 0x204
	v_cndmask_b32_e32 v10, 1.0, v7, vcc_lo
	s_delay_alu instid0(VALU_DEP_2) | instskip(SKIP_1) | instid1(VALU_DEP_2)
	v_cndmask_b32_e64 v5, v5, v6, s4
	v_cmp_gt_f32_e64 s4, 0, v8
	v_bfi_b32 v5, 0x7fffffff, v5, v10
	s_delay_alu instid0(VALU_DEP_2)
	s_xor_b32 s4, s4, s5
	v_cndmask_b32_e32 v10, 0, v7, vcc_lo
	v_cndmask_b32_e64 v6, 0x7f800000, 0, s4
	v_cmp_eq_f32_e32 vcc_lo, 0x7f800000, v9
	v_cndmask_b32_e64 v8, 0x7fc00000, v5, s3
	v_cmp_gt_f32_e64 s3, 0, v7
	s_delay_alu instid0(VALU_DEP_4) | instskip(SKIP_1) | instid1(VALU_DEP_2)
	v_bfi_b32 v6, 0x7fffffff, v6, v10
	s_or_b32 vcc_lo, vcc_lo, s5
	v_cndmask_b32_e64 v5, v5, v8, s3
	s_delay_alu instid0(VALU_DEP_1) | instskip(SKIP_1) | instid1(VALU_DEP_2)
	v_cndmask_b32_e32 v5, v5, v6, vcc_lo
	v_cmp_o_f32_e32 vcc_lo, v7, v7
	v_cndmask_b32_e32 v6, 0x7fc00000, v5, vcc_lo
.LBB7_8:
	s_load_b256 s[4:11], s[0:1], 0x0
	s_waitcnt lgkmcnt(0)
	s_cmp_lg_u64 s[8:9], 0
	s_cselect_b32 s12, -1, 0
	s_cmp_eq_u64 s[8:9], 0
	s_cbranch_scc1 .LBB7_12
; %bb.9:
	s_lshl_b64 s[0:1], s[14:15], 2
	s_delay_alu instid0(SALU_CYCLE_1)
	s_add_u32 s0, s8, s0
	s_addc_u32 s1, s9, s1
	s_load_b32 s0, s[0:1], 0x0
	s_branch .LBB7_13
.LBB7_10:
                                        ; implicit-def: $vgpr1_vgpr2
	s_branch .LBB7_2
.LBB7_11:
                                        ; implicit-def: $vgpr3_vgpr4
	s_branch .LBB7_5
.LBB7_12:
	s_mov_b32 s0, 0xff800000
.LBB7_13:
	s_mul_i32 s1, s25, s2
	v_dual_mov_b32 v8, 0 :: v_dual_lshlrev_b32 v5, 2, v0
	s_add_i32 s1, s1, s14
	s_delay_alu instid0(SALU_CYCLE_1) | instskip(NEXT) | instid1(SALU_CYCLE_1)
	s_mul_i32 s1, s1, s24
	s_add_i32 s2, s1, s13
	s_delay_alu instid0(SALU_CYCLE_1) | instskip(NEXT) | instid1(SALU_CYCLE_1)
	s_ashr_i32 s3, s2, 31
	s_lshl_b64 s[24:25], s[2:3], 11
	s_delay_alu instid0(SALU_CYCLE_1)
	s_add_u32 s4, s4, s24
	s_addc_u32 s5, s5, s25
	s_cmp_eq_u64 s[6:7], 0
	global_load_b32 v7, v5, s[4:5]
	s_cselect_b32 s1, -1, 0
	s_cmp_lg_u64 s[6:7], 0
	s_cbranch_scc0 .LBB7_15
; %bb.14:
	v_mul_lo_u32 v8, v1, s19
	v_mul_hi_u32 v9, v1, s18
	v_mul_lo_u32 v10, v3, s21
	v_mul_hi_u32 v11, v3, s20
	v_mul_lo_u32 v2, v2, s18
	v_mul_lo_u32 v1, v1, s18
	;; [unrolled: 1-line block ×4, first 2 shown]
	s_mul_i32 s4, s17, s13
	v_add_nc_u32_e32 v8, v9, v8
	s_mul_hi_u32 s5, s16, s13
	v_add_nc_u32_e32 v9, v11, v10
	s_mul_i32 s13, s16, s13
	s_add_i32 s5, s5, s4
	v_add_nc_u32_e32 v2, v8, v2
	v_add_co_u32 v1, vcc_lo, v1, s13
	v_add_nc_u32_e32 v4, v9, v4
	s_delay_alu instid0(VALU_DEP_3) | instskip(NEXT) | instid1(VALU_DEP_3)
	v_add_co_ci_u32_e32 v2, vcc_lo, s5, v2, vcc_lo
	v_add_co_u32 v1, vcc_lo, v1, v3
	v_lshlrev_b32_e32 v3, 1, v0
	s_delay_alu instid0(VALU_DEP_3) | instskip(NEXT) | instid1(VALU_DEP_1)
	v_add_co_ci_u32_e32 v2, vcc_lo, v2, v4, vcc_lo
	v_lshrrev_b64 v[1:2], 1, v[1:2]
	s_delay_alu instid0(VALU_DEP_1) | instskip(NEXT) | instid1(VALU_DEP_2)
	v_cndmask_b32_e64 v2, v2, 0, s1
	v_cndmask_b32_e64 v1, v1, 0, s1
	s_delay_alu instid0(VALU_DEP_1) | instskip(NEXT) | instid1(VALU_DEP_1)
	v_lshlrev_b64 v[1:2], 1, v[1:2]
	v_add_co_u32 v1, vcc_lo, s6, v1
	s_delay_alu instid0(VALU_DEP_2) | instskip(NEXT) | instid1(VALU_DEP_2)
	v_add_co_ci_u32_e32 v2, vcc_lo, s7, v2, vcc_lo
	v_readfirstlane_b32 s4, v1
	s_delay_alu instid0(VALU_DEP_2) | instskip(SKIP_3) | instid1(VALU_DEP_1)
	v_readfirstlane_b32 s5, v2
	global_load_u16 v1, v3, s[4:5]
	s_waitcnt vmcnt(0)
	v_cvt_f32_f16_e32 v1, v1
	v_mul_f32_e32 v8, v6, v1
.LBB7_15:
	v_mbcnt_lo_u32_b32 v1, -1, 0
	s_waitcnt lgkmcnt(0)
	v_max_f32_e64 v3, s0, s0
	s_delay_alu instid0(VALU_DEP_2) | instskip(SKIP_1) | instid1(VALU_DEP_2)
	v_xor_b32_e32 v2, 16, v1
	v_xor_b32_e32 v6, 8, v1
	v_cmp_gt_i32_e32 vcc_lo, 32, v2
	v_cndmask_b32_e32 v2, v1, v2, vcc_lo
	s_delay_alu instid0(VALU_DEP_3) | instskip(NEXT) | instid1(VALU_DEP_2)
	v_cmp_gt_i32_e32 vcc_lo, 32, v6
	v_lshlrev_b32_e32 v2, 2, v2
	v_cndmask_b32_e32 v6, v1, v6, vcc_lo
	s_waitcnt vmcnt(0)
	v_fmac_f32_e32 v8, s22, v7
	s_delay_alu instid0(VALU_DEP_1) | instskip(SKIP_3) | instid1(VALU_DEP_1)
	v_max_f32_e32 v4, v3, v8
	ds_bpermute_b32 v3, v2, v4
	s_waitcnt lgkmcnt(0)
	v_max_f32_e32 v7, v3, v3
	v_dual_max_f32 v6, v4, v7 :: v_dual_lshlrev_b32 v3, 2, v6
	v_xor_b32_e32 v7, 4, v1
	ds_bpermute_b32 v4, v3, v6
	v_cmp_gt_i32_e32 vcc_lo, 32, v7
	v_cndmask_b32_e32 v7, v1, v7, vcc_lo
	s_waitcnt lgkmcnt(0)
	s_delay_alu instid0(VALU_DEP_1) | instskip(NEXT) | instid1(VALU_DEP_1)
	v_dual_max_f32 v9, v4, v4 :: v_dual_lshlrev_b32 v4, 2, v7
	v_max_f32_e32 v7, v6, v9
	v_xor_b32_e32 v9, 2, v1
	ds_bpermute_b32 v6, v4, v7
	v_cmp_gt_i32_e32 vcc_lo, 32, v9
	s_waitcnt lgkmcnt(0)
	v_dual_cndmask_b32 v9, v1, v9 :: v_dual_max_f32 v10, v6, v6
	s_delay_alu instid0(VALU_DEP_1)
	v_dual_max_f32 v7, v7, v10 :: v_dual_lshlrev_b32 v6, 2, v9
	v_xor_b32_e32 v10, 1, v1
	ds_bpermute_b32 v9, v6, v7
	v_cmp_gt_i32_e32 vcc_lo, 32, v10
	s_waitcnt lgkmcnt(0)
	v_max_f32_e32 v9, v9, v9
	s_delay_alu instid0(VALU_DEP_1) | instskip(NEXT) | instid1(VALU_DEP_1)
	v_dual_cndmask_b32 v1, v1, v10 :: v_dual_max_f32 v10, v7, v9
	v_lshlrev_b32_e32 v7, 2, v1
	v_and_b32_e32 v9, 31, v0
	v_lshl_add_u32 v1, v0, 2, 0
	v_lshrrev_b32_e32 v0, 3, v0
	ds_bpermute_b32 v11, v7, v10
	v_cmp_eq_u32_e32 vcc_lo, 0, v9
	ds_store_b32 v1, v8 offset:128
	s_and_saveexec_b32 s0, vcc_lo
	s_delay_alu instid0(SALU_CYCLE_1)
	s_xor_b32 s0, exec_lo, s0
	s_cbranch_execz .LBB7_17
; %bb.16:
	s_waitcnt lgkmcnt(1)
	v_max_f32_e32 v8, v11, v11
	v_max_f32_e32 v10, v10, v10
	s_delay_alu instid0(VALU_DEP_1)
	v_max_f32_e32 v8, v10, v8
	v_add_nc_u32_e32 v10, 0, v0
	ds_store_b32 v10, v8
.LBB7_17:
	s_or_b32 exec_lo, exec_lo, s0
	v_cmp_gt_u32_e64 s0, 16, v9
	v_mov_b32_e32 v10, 0xff800000
	v_lshl_add_u32 v8, v9, 2, 0
	s_waitcnt lgkmcnt(0)
	s_barrier
	buffer_gl0_inv
	s_and_saveexec_b32 s1, s0
	s_cbranch_execz .LBB7_19
; %bb.18:
	ds_load_b32 v10, v8
.LBB7_19:
	s_or_b32 exec_lo, exec_lo, s1
	s_waitcnt lgkmcnt(0)
	ds_bpermute_b32 v9, v2, v10
	v_max_f32_e32 v10, v10, v10
	ds_load_b32 v11, v1 offset:128
	s_waitcnt lgkmcnt(1)
	v_max_f32_e32 v9, v9, v9
	s_delay_alu instid0(VALU_DEP_1) | instskip(SKIP_3) | instid1(VALU_DEP_1)
	v_max_f32_e32 v9, v10, v9
	ds_bpermute_b32 v10, v3, v9
	s_waitcnt lgkmcnt(0)
	v_max_f32_e32 v10, v10, v10
	v_max_f32_e32 v9, v9, v10
	ds_bpermute_b32 v10, v4, v9
	s_waitcnt lgkmcnt(0)
	v_max_f32_e32 v10, v10, v10
	s_delay_alu instid0(VALU_DEP_1) | instskip(SKIP_3) | instid1(VALU_DEP_1)
	v_max_f32_e32 v9, v9, v10
	ds_bpermute_b32 v10, v6, v9
	s_waitcnt lgkmcnt(0)
	v_max_f32_e32 v10, v10, v10
	v_max_f32_e32 v9, v9, v10
	ds_bpermute_b32 v10, v7, v9
	s_waitcnt lgkmcnt(0)
	v_max_f32_e32 v10, v10, v10
	s_delay_alu instid0(VALU_DEP_1) | instskip(NEXT) | instid1(VALU_DEP_1)
	v_max_f32_e32 v9, v9, v10
	v_sub_f32_e32 v10, v11, v9
	s_delay_alu instid0(VALU_DEP_1) | instskip(SKIP_1) | instid1(VALU_DEP_2)
	v_mul_f32_e32 v11, 0x3fb8aa3b, v10
	v_cmp_ngt_f32_e64 s1, 0xc2ce8ed0, v10
	v_fma_f32 v12, 0x3fb8aa3b, v10, -v11
	v_rndne_f32_e32 v13, v11
	s_delay_alu instid0(VALU_DEP_1) | instskip(NEXT) | instid1(VALU_DEP_1)
	v_dual_fmamk_f32 v12, v10, 0x32a5705f, v12 :: v_dual_sub_f32 v11, v11, v13
	v_add_f32_e32 v11, v11, v12
	v_cvt_i32_f32_e32 v12, v13
	s_delay_alu instid0(VALU_DEP_2) | instskip(SKIP_2) | instid1(VALU_DEP_1)
	v_exp_f32_e32 v11, v11
	s_waitcnt_depctr 0xfff
	v_ldexp_f32 v11, v11, v12
	v_cndmask_b32_e64 v11, 0, v11, s1
	v_cmp_nlt_f32_e64 s1, 0x42b17218, v10
	s_delay_alu instid0(VALU_DEP_1)
	v_cndmask_b32_e64 v12, 0x7f800000, v11, s1
	ds_bpermute_b32 v10, v2, v12
	ds_store_b32 v1, v12 offset:128
	s_waitcnt lgkmcnt(1)
	v_add_f32_e32 v10, v12, v10
	ds_bpermute_b32 v11, v3, v10
	s_waitcnt lgkmcnt(0)
	v_add_f32_e32 v10, v10, v11
	ds_bpermute_b32 v11, v4, v10
	;; [unrolled: 3-line block ×4, first 2 shown]
	s_and_saveexec_b32 s1, vcc_lo
	s_cbranch_execz .LBB7_21
; %bb.20:
	s_waitcnt lgkmcnt(0)
	v_add_f32_e32 v10, v10, v11
	v_add_nc_u32_e32 v0, 0, v0
	ds_store_b32 v0, v10
.LBB7_21:
	s_or_b32 exec_lo, exec_lo, s1
	v_mov_b32_e32 v0, 0
	s_waitcnt lgkmcnt(0)
	s_barrier
	buffer_gl0_inv
	s_and_saveexec_b32 s1, s0
	s_cbranch_execz .LBB7_23
; %bb.22:
	ds_load_b32 v0, v8
.LBB7_23:
	s_or_b32 exec_lo, exec_lo, s1
	s_waitcnt lgkmcnt(0)
	ds_bpermute_b32 v2, v2, v0
	s_and_not1_b32 vcc_lo, exec_lo, s12
	s_lshl_b64 s[0:1], s[2:3], 9
	s_waitcnt lgkmcnt(0)
	v_add_f32_e32 v0, v0, v2
	ds_bpermute_b32 v2, v3, v0
	s_waitcnt lgkmcnt(0)
	v_add_f32_e32 v0, v0, v2
	ds_bpermute_b32 v2, v4, v0
	;; [unrolled: 3-line block ×4, first 2 shown]
	s_waitcnt lgkmcnt(0)
	v_add_f32_e32 v0, v0, v2
	s_cbranch_vccnz .LBB7_25
; %bb.24:
	s_lshl_b64 s[2:3], s[14:15], 2
	s_delay_alu instid0(SALU_CYCLE_1) | instskip(SKIP_4) | instid1(VALU_DEP_1)
	s_add_u32 s2, s8, s2
	s_addc_u32 s3, s9, s3
	s_load_b32 s2, s[2:3], 0x0
	s_waitcnt lgkmcnt(0)
	v_sub_f32_e32 v2, s2, v9
	v_mul_f32_e32 v3, 0x3fb8aa3b, v2
	s_delay_alu instid0(VALU_DEP_1) | instskip(SKIP_1) | instid1(VALU_DEP_1)
	v_fma_f32 v4, 0x3fb8aa3b, v2, -v3
	v_rndne_f32_e32 v6, v3
	v_sub_f32_e32 v3, v3, v6
	v_cmp_ngt_f32_e32 vcc_lo, 0xc2ce8ed0, v2
	s_delay_alu instid0(VALU_DEP_4) | instskip(NEXT) | instid1(VALU_DEP_1)
	v_fmamk_f32 v4, v2, 0x32a5705f, v4
	v_add_f32_e32 v3, v3, v4
	v_cvt_i32_f32_e32 v4, v6
	s_delay_alu instid0(VALU_DEP_2) | instskip(SKIP_2) | instid1(VALU_DEP_1)
	v_exp_f32_e32 v3, v3
	s_waitcnt_depctr 0xfff
	v_ldexp_f32 v3, v3, v4
	v_cndmask_b32_e32 v3, 0, v3, vcc_lo
	v_cmp_nlt_f32_e32 vcc_lo, 0x42b17218, v2
	s_delay_alu instid0(VALU_DEP_2) | instskip(NEXT) | instid1(VALU_DEP_1)
	v_cndmask_b32_e32 v2, 0x7f800000, v3, vcc_lo
	v_add_f32_e32 v0, v0, v2
.LBB7_25:
	s_delay_alu instid0(VALU_DEP_1) | instskip(SKIP_4) | instid1(SALU_CYCLE_1)
	v_div_scale_f32 v2, null, v0, v0, 1.0
	v_div_scale_f32 v6, vcc_lo, 1.0, v0, 1.0
	ds_load_b32 v1, v1 offset:128
	v_rcp_f32_e32 v3, v2
	s_lshl_b64 s[0:1], s[0:1], 2
	s_add_u32 s0, s10, s0
	s_addc_u32 s1, s11, s1
	s_waitcnt_depctr 0xfff
	v_fma_f32 v4, -v2, v3, 1.0
	s_delay_alu instid0(VALU_DEP_1) | instskip(NEXT) | instid1(VALU_DEP_1)
	v_fmac_f32_e32 v3, v4, v3
	v_mul_f32_e32 v4, v6, v3
	s_delay_alu instid0(VALU_DEP_1) | instskip(NEXT) | instid1(VALU_DEP_1)
	v_fma_f32 v7, -v2, v4, v6
	v_fmac_f32_e32 v4, v7, v3
	s_delay_alu instid0(VALU_DEP_1) | instskip(NEXT) | instid1(VALU_DEP_1)
	v_fma_f32 v2, -v2, v4, v6
	v_div_fmas_f32 v2, v2, v3, v4
	s_delay_alu instid0(VALU_DEP_1) | instskip(SKIP_1) | instid1(VALU_DEP_1)
	v_div_fixup_f32 v0, v2, v0, 1.0
	s_waitcnt lgkmcnt(0)
	v_mul_f32_e32 v0, v1, v0
	global_store_b32 v5, v0, s[0:1]
	s_nop 0
	s_sendmsg sendmsg(MSG_DEALLOC_VGPRS)
	s_endpgm
	.section	.rodata,"a",@progbits
	.p2align	6, 0x0
	.amdhsa_kernel _ZL12soft_max_f32ILb1ELi512ELi512E6__halfEvPKfPKT2_S2_Pf15soft_max_params
		.amdhsa_group_segment_fixed_size 0
		.amdhsa_private_segment_fixed_size 0
		.amdhsa_kernarg_size 416
		.amdhsa_user_sgpr_count 13
		.amdhsa_user_sgpr_dispatch_ptr 0
		.amdhsa_user_sgpr_queue_ptr 0
		.amdhsa_user_sgpr_kernarg_segment_ptr 1
		.amdhsa_user_sgpr_dispatch_id 0
		.amdhsa_user_sgpr_private_segment_size 0
		.amdhsa_wavefront_size32 1
		.amdhsa_uses_dynamic_stack 0
		.amdhsa_enable_private_segment 0
		.amdhsa_system_sgpr_workgroup_id_x 1
		.amdhsa_system_sgpr_workgroup_id_y 1
		.amdhsa_system_sgpr_workgroup_id_z 1
		.amdhsa_system_sgpr_workgroup_info 0
		.amdhsa_system_vgpr_workitem_id 0
		.amdhsa_next_free_vgpr 19
		.amdhsa_next_free_sgpr 28
		.amdhsa_reserve_vcc 1
		.amdhsa_float_round_mode_32 0
		.amdhsa_float_round_mode_16_64 0
		.amdhsa_float_denorm_mode_32 3
		.amdhsa_float_denorm_mode_16_64 3
		.amdhsa_dx10_clamp 1
		.amdhsa_ieee_mode 1
		.amdhsa_fp16_overflow 0
		.amdhsa_workgroup_processor_mode 1
		.amdhsa_memory_ordered 1
		.amdhsa_forward_progress 0
		.amdhsa_shared_vgpr_count 0
		.amdhsa_exception_fp_ieee_invalid_op 0
		.amdhsa_exception_fp_denorm_src 0
		.amdhsa_exception_fp_ieee_div_zero 0
		.amdhsa_exception_fp_ieee_overflow 0
		.amdhsa_exception_fp_ieee_underflow 0
		.amdhsa_exception_fp_ieee_inexact 0
		.amdhsa_exception_int_div_zero 0
	.end_amdhsa_kernel
	.section	.text._ZL12soft_max_f32ILb1ELi512ELi512E6__halfEvPKfPKT2_S2_Pf15soft_max_params,"axG",@progbits,_ZL12soft_max_f32ILb1ELi512ELi512E6__halfEvPKfPKT2_S2_Pf15soft_max_params,comdat
.Lfunc_end7:
	.size	_ZL12soft_max_f32ILb1ELi512ELi512E6__halfEvPKfPKT2_S2_Pf15soft_max_params, .Lfunc_end7-_ZL12soft_max_f32ILb1ELi512ELi512E6__halfEvPKfPKT2_S2_Pf15soft_max_params
                                        ; -- End function
	.section	.AMDGPU.csdata,"",@progbits
; Kernel info:
; codeLenInByte = 4304
; NumSgprs: 30
; NumVgprs: 19
; ScratchSize: 0
; MemoryBound: 0
; FloatMode: 240
; IeeeMode: 1
; LDSByteSize: 0 bytes/workgroup (compile time only)
; SGPRBlocks: 3
; VGPRBlocks: 2
; NumSGPRsForWavesPerEU: 30
; NumVGPRsForWavesPerEU: 19
; Occupancy: 16
; WaveLimiterHint : 1
; COMPUTE_PGM_RSRC2:SCRATCH_EN: 0
; COMPUTE_PGM_RSRC2:USER_SGPR: 13
; COMPUTE_PGM_RSRC2:TRAP_HANDLER: 0
; COMPUTE_PGM_RSRC2:TGID_X_EN: 1
; COMPUTE_PGM_RSRC2:TGID_Y_EN: 1
; COMPUTE_PGM_RSRC2:TGID_Z_EN: 1
; COMPUTE_PGM_RSRC2:TIDIG_COMP_CNT: 0
	.section	.text._ZL12soft_max_f32ILb1ELi256ELi256E6__halfEvPKfPKT2_S2_Pf15soft_max_params,"axG",@progbits,_ZL12soft_max_f32ILb1ELi256ELi256E6__halfEvPKfPKT2_S2_Pf15soft_max_params,comdat
	.globl	_ZL12soft_max_f32ILb1ELi256ELi256E6__halfEvPKfPKT2_S2_Pf15soft_max_params ; -- Begin function _ZL12soft_max_f32ILb1ELi256ELi256E6__halfEvPKfPKT2_S2_Pf15soft_max_params
	.p2align	8
	.type	_ZL12soft_max_f32ILb1ELi256ELi256E6__halfEvPKfPKT2_S2_Pf15soft_max_params,@function
_ZL12soft_max_f32ILb1ELi256ELi256E6__halfEvPKfPKT2_S2_Pf15soft_max_params: ; @_ZL12soft_max_f32ILb1ELi256ELi256E6__halfEvPKfPKT2_S2_Pf15soft_max_params
; %bb.0:
	s_clause 0x1
	s_load_b256 s[16:23], s[0:1], 0x68
	s_load_b64 s[4:5], s[0:1], 0x88
	s_mov_b32 s2, s15
	s_mov_b32 s15, 0
	s_delay_alu instid0(SALU_CYCLE_1) | instskip(SKIP_2) | instid1(SALU_CYCLE_1)
	s_mov_b32 s6, s15
	s_waitcnt lgkmcnt(0)
	s_mov_b32 s7, s23
	s_cmp_lg_u64 s[6:7], 0
	s_cbranch_scc0 .LBB8_10
; %bb.1:
	s_ashr_i32 s6, s23, 31
	s_delay_alu instid0(SALU_CYCLE_1) | instskip(SKIP_2) | instid1(SALU_CYCLE_1)
	s_add_u32 s8, s22, s6
	s_mov_b32 s7, s6
	s_addc_u32 s9, s23, s6
	s_xor_b64 s[6:7], s[8:9], s[6:7]
	s_delay_alu instid0(SALU_CYCLE_1) | instskip(SKIP_3) | instid1(VALU_DEP_1)
	v_cvt_f32_u32_e32 v1, s6
	v_cvt_f32_u32_e32 v2, s7
	s_sub_u32 s9, 0, s6
	s_subb_u32 s10, 0, s7
	v_fmamk_f32 v1, v2, 0x4f800000, v1
	s_delay_alu instid0(VALU_DEP_1) | instskip(SKIP_2) | instid1(VALU_DEP_1)
	v_rcp_f32_e32 v1, v1
	s_waitcnt_depctr 0xfff
	v_mul_f32_e32 v1, 0x5f7ffffc, v1
	v_mul_f32_e32 v2, 0x2f800000, v1
	s_delay_alu instid0(VALU_DEP_1) | instskip(NEXT) | instid1(VALU_DEP_1)
	v_trunc_f32_e32 v2, v2
	v_fmamk_f32 v1, v2, 0xcf800000, v1
	v_cvt_u32_f32_e32 v2, v2
	s_delay_alu instid0(VALU_DEP_2) | instskip(NEXT) | instid1(VALU_DEP_2)
	v_cvt_u32_f32_e32 v1, v1
	v_readfirstlane_b32 s3, v2
	s_delay_alu instid0(VALU_DEP_2) | instskip(NEXT) | instid1(VALU_DEP_2)
	v_readfirstlane_b32 s8, v1
	s_mul_i32 s11, s9, s3
	s_delay_alu instid0(VALU_DEP_1)
	s_mul_hi_u32 s23, s9, s8
	s_mul_i32 s12, s10, s8
	s_add_i32 s11, s23, s11
	s_mul_i32 s24, s9, s8
	s_add_i32 s11, s11, s12
	s_mul_hi_u32 s23, s8, s24
	s_mul_hi_u32 s25, s3, s24
	s_mul_i32 s12, s3, s24
	s_mul_hi_u32 s24, s8, s11
	s_mul_i32 s8, s8, s11
	s_mul_hi_u32 s26, s3, s11
	s_add_u32 s8, s23, s8
	s_addc_u32 s23, 0, s24
	s_add_u32 s8, s8, s12
	s_mul_i32 s11, s3, s11
	s_addc_u32 s8, s23, s25
	s_addc_u32 s12, s26, 0
	s_add_u32 s8, s8, s11
	s_addc_u32 s11, 0, s12
	v_add_co_u32 v1, s8, v1, s8
	s_delay_alu instid0(VALU_DEP_1) | instskip(SKIP_1) | instid1(VALU_DEP_1)
	s_cmp_lg_u32 s8, 0
	s_addc_u32 s3, s3, s11
	v_readfirstlane_b32 s8, v1
	s_mul_i32 s11, s9, s3
	s_delay_alu instid0(VALU_DEP_1)
	s_mul_hi_u32 s12, s9, s8
	s_mul_i32 s10, s10, s8
	s_add_i32 s11, s12, s11
	s_mul_i32 s9, s9, s8
	s_add_i32 s11, s11, s10
	s_mul_hi_u32 s12, s3, s9
	s_mul_i32 s23, s3, s9
	s_mul_hi_u32 s9, s8, s9
	s_mul_hi_u32 s24, s8, s11
	s_mul_i32 s8, s8, s11
	s_mul_hi_u32 s10, s3, s11
	s_add_u32 s8, s9, s8
	s_addc_u32 s9, 0, s24
	s_add_u32 s8, s8, s23
	s_mul_i32 s11, s3, s11
	s_addc_u32 s8, s9, s12
	s_addc_u32 s9, s10, 0
	s_add_u32 s8, s8, s11
	s_addc_u32 s9, 0, s9
	v_add_co_u32 v1, s8, v1, s8
	s_delay_alu instid0(VALU_DEP_1) | instskip(SKIP_1) | instid1(VALU_DEP_1)
	s_cmp_lg_u32 s8, 0
	s_addc_u32 s3, s3, s9
	v_readfirstlane_b32 s8, v1
	s_mul_i32 s9, s14, s3
	s_mul_hi_u32 s3, s14, s3
	s_delay_alu instid0(VALU_DEP_1) | instskip(NEXT) | instid1(SALU_CYCLE_1)
	s_mul_hi_u32 s8, s14, s8
	s_add_u32 s8, s8, s9
	s_addc_u32 s3, 0, s3
	s_add_u32 s8, s8, 0
	s_addc_u32 s3, s3, 0
	s_addc_u32 s8, 0, 0
	s_add_u32 s3, s3, 0
	s_addc_u32 s8, 0, s8
	s_mul_hi_u32 s9, s6, s3
	s_mul_i32 s8, s6, s8
	s_mul_i32 s10, s7, s3
	;; [unrolled: 1-line block ×3, first 2 shown]
	s_add_i32 s8, s9, s8
	v_sub_co_u32 v1, s3, s14, s3
	s_add_i32 s8, s8, s10
	s_delay_alu instid0(SALU_CYCLE_1) | instskip(SKIP_1) | instid1(VALU_DEP_1)
	s_sub_i32 s9, 0, s8
	s_cmp_lg_u32 s3, 0
	v_sub_co_u32 v2, s10, v1, s6
	s_subb_u32 s9, s9, s7
	s_cmp_lg_u32 s10, 0
	s_subb_u32 s11, s9, 0
	s_delay_alu instid0(VALU_DEP_1)
	v_cmp_le_u32_e32 vcc_lo, s6, v2
	s_cmp_ge_u32 s11, s7
	s_cselect_b32 s12, -1, 0
	s_cmp_eq_u32 s11, s7
	v_cndmask_b32_e64 v3, 0, -1, vcc_lo
	s_cselect_b32 vcc_lo, -1, 0
	s_cmp_lg_u32 s10, 0
	v_sub_co_u32 v4, s10, v2, s6
	s_subb_u32 s9, s9, s7
	s_cmp_lg_u32 s10, 0
	v_cndmask_b32_e32 v3, s12, v3, vcc_lo
	s_subb_u32 s9, s9, 0
	s_cmp_lg_u32 s3, 0
	v_cmp_le_u32_e32 vcc_lo, s6, v1
	s_subb_u32 s8, 0, s8
	s_delay_alu instid0(SALU_CYCLE_1)
	s_cmp_ge_u32 s8, s7
	v_cndmask_b32_e64 v5, 0, -1, vcc_lo
	s_cselect_b32 s6, -1, 0
	s_cmp_eq_u32 s8, s7
	v_cmp_ne_u32_e32 vcc_lo, 0, v3
	v_mov_b32_e32 v3, s9
	s_cselect_b32 s3, -1, 0
	s_delay_alu instid0(SALU_CYCLE_1) | instskip(SKIP_1) | instid1(VALU_DEP_3)
	v_cndmask_b32_e64 v5, s6, v5, s3
	v_cndmask_b32_e32 v2, v2, v4, vcc_lo
	v_cndmask_b32_e32 v3, s11, v3, vcc_lo
	s_mov_b32 s3, s15
	s_delay_alu instid0(VALU_DEP_3) | instskip(NEXT) | instid1(VALU_DEP_3)
	v_cmp_ne_u32_e32 vcc_lo, 0, v5
	v_cndmask_b32_e32 v1, v1, v2, vcc_lo
	s_delay_alu instid0(VALU_DEP_3) | instskip(NEXT) | instid1(VALU_DEP_2)
	v_cndmask_b32_e32 v3, s8, v3, vcc_lo
	v_sub_co_u32 v1, vcc_lo, v1, 0
	s_delay_alu instid0(VALU_DEP_2)
	v_subrev_co_ci_u32_e32 v2, vcc_lo, 0, v3, vcc_lo
	s_and_not1_b32 vcc_lo, exec_lo, s3
	s_cbranch_vccnz .LBB8_3
.LBB8_2:
	v_cvt_f32_u32_e32 v1, s22
	s_mov_b32 s7, 0
	s_sub_i32 s6, 0, s22
	s_delay_alu instid0(VALU_DEP_1) | instskip(SKIP_2) | instid1(VALU_DEP_1)
	v_rcp_iflag_f32_e32 v1, v1
	s_waitcnt_depctr 0xfff
	v_mul_f32_e32 v1, 0x4f7ffffe, v1
	v_cvt_u32_f32_e32 v1, v1
	s_delay_alu instid0(VALU_DEP_1) | instskip(NEXT) | instid1(VALU_DEP_1)
	v_readfirstlane_b32 s3, v1
	s_mul_i32 s6, s6, s3
	s_delay_alu instid0(SALU_CYCLE_1) | instskip(NEXT) | instid1(SALU_CYCLE_1)
	s_mul_hi_u32 s6, s3, s6
	s_add_i32 s3, s3, s6
	s_delay_alu instid0(SALU_CYCLE_1) | instskip(NEXT) | instid1(SALU_CYCLE_1)
	s_mul_hi_u32 s3, s14, s3
	s_mul_i32 s3, s3, s22
	s_delay_alu instid0(SALU_CYCLE_1) | instskip(NEXT) | instid1(SALU_CYCLE_1)
	s_sub_i32 s3, s14, s3
	s_sub_i32 s6, s3, s22
	s_cmp_ge_u32 s3, s22
	s_cselect_b32 s3, s6, s3
	s_delay_alu instid0(SALU_CYCLE_1) | instskip(SKIP_2) | instid1(SALU_CYCLE_1)
	s_sub_i32 s6, s3, s22
	s_cmp_ge_u32 s3, s22
	s_cselect_b32 s6, s6, s3
	v_dual_mov_b32 v1, s6 :: v_dual_mov_b32 v2, s7
.LBB8_3:
	s_load_b64 s[22:23], s[0:1], 0x90
	s_mov_b32 s6, 0
	s_mov_b32 s7, s5
	s_delay_alu instid0(SALU_CYCLE_1)
	s_cmp_lg_u64 s[6:7], 0
	s_cbranch_scc0 .LBB8_11
; %bb.4:
	s_ashr_i32 s8, s5, 31
	s_delay_alu instid0(SALU_CYCLE_1) | instskip(SKIP_2) | instid1(SALU_CYCLE_1)
	s_add_u32 s10, s4, s8
	s_mov_b32 s9, s8
	s_addc_u32 s11, s5, s8
	s_xor_b64 s[8:9], s[10:11], s[8:9]
	s_delay_alu instid0(SALU_CYCLE_1) | instskip(SKIP_3) | instid1(VALU_DEP_1)
	v_cvt_f32_u32_e32 v3, s8
	v_cvt_f32_u32_e32 v4, s9
	s_sub_u32 s7, 0, s8
	s_subb_u32 s10, 0, s9
	v_fmamk_f32 v3, v4, 0x4f800000, v3
	s_delay_alu instid0(VALU_DEP_1) | instskip(SKIP_2) | instid1(VALU_DEP_1)
	v_rcp_f32_e32 v3, v3
	s_waitcnt_depctr 0xfff
	v_mul_f32_e32 v3, 0x5f7ffffc, v3
	v_mul_f32_e32 v4, 0x2f800000, v3
	s_delay_alu instid0(VALU_DEP_1) | instskip(NEXT) | instid1(VALU_DEP_1)
	v_trunc_f32_e32 v4, v4
	v_fmamk_f32 v3, v4, 0xcf800000, v3
	v_cvt_u32_f32_e32 v4, v4
	s_delay_alu instid0(VALU_DEP_2) | instskip(NEXT) | instid1(VALU_DEP_2)
	v_cvt_u32_f32_e32 v3, v3
	v_readfirstlane_b32 s3, v4
	s_delay_alu instid0(VALU_DEP_2) | instskip(NEXT) | instid1(VALU_DEP_2)
	v_readfirstlane_b32 s5, v3
	s_mul_i32 s11, s7, s3
	s_delay_alu instid0(VALU_DEP_1)
	s_mul_hi_u32 s24, s7, s5
	s_mul_i32 s12, s10, s5
	s_add_i32 s11, s24, s11
	s_mul_i32 s25, s7, s5
	s_add_i32 s11, s11, s12
	s_mul_hi_u32 s24, s5, s25
	s_mul_hi_u32 s26, s3, s25
	s_mul_i32 s12, s3, s25
	s_mul_hi_u32 s25, s5, s11
	s_mul_i32 s5, s5, s11
	s_mul_hi_u32 s27, s3, s11
	s_add_u32 s5, s24, s5
	s_addc_u32 s24, 0, s25
	s_add_u32 s5, s5, s12
	s_mul_i32 s11, s3, s11
	s_addc_u32 s5, s24, s26
	s_addc_u32 s12, s27, 0
	s_add_u32 s5, s5, s11
	s_addc_u32 s11, 0, s12
	v_add_co_u32 v3, s5, v3, s5
	s_delay_alu instid0(VALU_DEP_1) | instskip(SKIP_1) | instid1(VALU_DEP_1)
	s_cmp_lg_u32 s5, 0
	s_addc_u32 s3, s3, s11
	v_readfirstlane_b32 s5, v3
	s_mul_i32 s11, s7, s3
	s_delay_alu instid0(VALU_DEP_1)
	s_mul_hi_u32 s12, s7, s5
	s_mul_i32 s10, s10, s5
	s_add_i32 s11, s12, s11
	s_mul_i32 s7, s7, s5
	s_add_i32 s11, s11, s10
	s_mul_hi_u32 s12, s3, s7
	s_mul_i32 s24, s3, s7
	s_mul_hi_u32 s7, s5, s7
	s_mul_hi_u32 s25, s5, s11
	s_mul_i32 s5, s5, s11
	s_mul_hi_u32 s10, s3, s11
	s_add_u32 s5, s7, s5
	s_addc_u32 s7, 0, s25
	s_add_u32 s5, s5, s24
	s_mul_i32 s11, s3, s11
	s_addc_u32 s5, s7, s12
	s_addc_u32 s7, s10, 0
	s_add_u32 s5, s5, s11
	s_addc_u32 s7, 0, s7
	v_add_co_u32 v3, s5, v3, s5
	s_delay_alu instid0(VALU_DEP_1) | instskip(SKIP_1) | instid1(VALU_DEP_1)
	s_cmp_lg_u32 s5, 0
	s_addc_u32 s3, s3, s7
	v_readfirstlane_b32 s5, v3
	s_mul_i32 s7, s2, s3
	s_mul_hi_u32 s3, s2, s3
	s_delay_alu instid0(VALU_DEP_1) | instskip(NEXT) | instid1(SALU_CYCLE_1)
	s_mul_hi_u32 s5, s2, s5
	s_add_u32 s5, s5, s7
	s_addc_u32 s3, 0, s3
	s_add_u32 s5, s5, 0
	s_addc_u32 s3, s3, 0
	s_addc_u32 s5, 0, 0
	s_add_u32 s3, s3, 0
	s_addc_u32 s5, 0, s5
	s_mul_hi_u32 s7, s8, s3
	s_mul_i32 s5, s8, s5
	s_mul_i32 s10, s9, s3
	;; [unrolled: 1-line block ×3, first 2 shown]
	s_add_i32 s5, s7, s5
	v_sub_co_u32 v3, s3, s2, s3
	s_add_i32 s5, s5, s10
	s_delay_alu instid0(SALU_CYCLE_1) | instskip(SKIP_1) | instid1(VALU_DEP_1)
	s_sub_i32 s7, 0, s5
	s_cmp_lg_u32 s3, 0
	v_sub_co_u32 v4, s10, v3, s8
	s_subb_u32 s7, s7, s9
	s_cmp_lg_u32 s10, 0
	s_subb_u32 s11, s7, 0
	s_delay_alu instid0(VALU_DEP_1)
	v_cmp_le_u32_e32 vcc_lo, s8, v4
	s_cmp_ge_u32 s11, s9
	s_cselect_b32 s12, -1, 0
	s_cmp_eq_u32 s11, s9
	v_cndmask_b32_e64 v5, 0, -1, vcc_lo
	s_cselect_b32 vcc_lo, -1, 0
	s_cmp_lg_u32 s10, 0
	v_sub_co_u32 v6, s10, v4, s8
	s_subb_u32 s7, s7, s9
	s_cmp_lg_u32 s10, 0
	v_cndmask_b32_e32 v5, s12, v5, vcc_lo
	s_subb_u32 s7, s7, 0
	s_cmp_lg_u32 s3, 0
	v_cmp_le_u32_e32 vcc_lo, s8, v3
	s_subb_u32 s5, 0, s5
	s_delay_alu instid0(SALU_CYCLE_1)
	s_cmp_ge_u32 s5, s9
	v_cndmask_b32_e64 v7, 0, -1, vcc_lo
	s_cselect_b32 s8, -1, 0
	s_cmp_eq_u32 s5, s9
	v_cmp_ne_u32_e32 vcc_lo, 0, v5
	v_mov_b32_e32 v5, s7
	s_cselect_b32 s3, -1, 0
	s_delay_alu instid0(SALU_CYCLE_1) | instskip(SKIP_1) | instid1(VALU_DEP_3)
	v_cndmask_b32_e64 v7, s8, v7, s3
	v_cndmask_b32_e32 v4, v4, v6, vcc_lo
	v_cndmask_b32_e32 v5, s11, v5, vcc_lo
	s_delay_alu instid0(VALU_DEP_3) | instskip(NEXT) | instid1(VALU_DEP_3)
	v_cmp_ne_u32_e32 vcc_lo, 0, v7
	v_cndmask_b32_e32 v3, v3, v4, vcc_lo
	s_delay_alu instid0(VALU_DEP_3) | instskip(NEXT) | instid1(VALU_DEP_2)
	v_cndmask_b32_e32 v5, s5, v5, vcc_lo
	v_sub_co_u32 v3, vcc_lo, v3, 0
	s_delay_alu instid0(VALU_DEP_2)
	v_subrev_co_ci_u32_e32 v4, vcc_lo, 0, v5, vcc_lo
	s_and_not1_b32 vcc_lo, exec_lo, s6
	s_cbranch_vccnz .LBB8_6
.LBB8_5:
	v_cvt_f32_u32_e32 v3, s4
	s_sub_i32 s5, 0, s4
	s_delay_alu instid0(VALU_DEP_1) | instskip(SKIP_2) | instid1(VALU_DEP_1)
	v_rcp_iflag_f32_e32 v3, v3
	s_waitcnt_depctr 0xfff
	v_mul_f32_e32 v3, 0x4f7ffffe, v3
	v_cvt_u32_f32_e32 v3, v3
	s_delay_alu instid0(VALU_DEP_1) | instskip(NEXT) | instid1(VALU_DEP_1)
	v_readfirstlane_b32 s3, v3
	s_mul_i32 s5, s5, s3
	s_delay_alu instid0(SALU_CYCLE_1) | instskip(NEXT) | instid1(SALU_CYCLE_1)
	s_mul_hi_u32 s5, s3, s5
	s_add_i32 s3, s3, s5
	s_delay_alu instid0(SALU_CYCLE_1) | instskip(NEXT) | instid1(SALU_CYCLE_1)
	s_mul_hi_u32 s3, s2, s3
	s_mul_i32 s3, s3, s4
	s_delay_alu instid0(SALU_CYCLE_1) | instskip(NEXT) | instid1(SALU_CYCLE_1)
	s_sub_i32 s3, s2, s3
	s_sub_i32 s5, s3, s4
	s_cmp_ge_u32 s3, s4
	s_cselect_b32 s3, s5, s3
	s_mov_b32 s5, 0
	s_sub_i32 s6, s3, s4
	s_cmp_ge_u32 s3, s4
	s_cselect_b32 s4, s6, s3
	s_delay_alu instid0(SALU_CYCLE_1)
	v_dual_mov_b32 v3, s4 :: v_dual_mov_b32 v4, s5
.LBB8_6:
	s_load_b64 s[24:25], s[0:1], 0xa0
	s_waitcnt lgkmcnt(0)
	v_cmp_le_f32_e64 s3, s23, 0
	v_mov_b32_e32 v6, 1.0
	s_delay_alu instid0(VALU_DEP_2)
	s_and_b32 vcc_lo, exec_lo, s3
	s_cbranch_vccnz .LBB8_8
; %bb.7:
	s_clause 0x1
	s_load_b32 s3, s[0:1], 0x28
	s_load_b64 s[4:5], s[0:1], 0x98
	s_add_i32 s7, s14, 1
	s_waitcnt lgkmcnt(0)
	s_sub_i32 s6, s14, s3
	v_mov_b32_e32 v5, s4
	s_lshl_b32 s6, s6, 1
	s_delay_alu instid0(SALU_CYCLE_1)
	s_or_b32 s4, s6, 1
	s_cmp_lt_u32 s14, s3
	s_cselect_b32 vcc_lo, -1, 0
	v_cndmask_b32_e32 v7, s5, v5, vcc_lo
	s_and_b32 s3, vcc_lo, exec_lo
	s_cselect_b32 s3, s7, s4
	s_mov_b32 s4, 0x3e76c4e1
	v_cvt_f32_i32_e32 v5, s3
	v_cmp_neq_f32_e32 vcc_lo, 1.0, v7
	s_delay_alu instid0(VALU_DEP_2) | instskip(NEXT) | instid1(VALU_DEP_1)
	v_cndmask_b32_e32 v8, 1.0, v5, vcc_lo
	v_cmp_eq_f32_e32 vcc_lo, 0, v8
	v_cndmask_b32_e64 v9, |v7|, 1.0, vcc_lo
	s_delay_alu instid0(VALU_DEP_1) | instskip(NEXT) | instid1(VALU_DEP_1)
	v_frexp_mant_f32_e32 v5, v9
	v_cmp_gt_f32_e64 s3, 0x3f2aaaab, v5
	s_delay_alu instid0(VALU_DEP_1) | instskip(NEXT) | instid1(VALU_DEP_1)
	v_cndmask_b32_e64 v6, 1.0, 2.0, s3
	v_mul_f32_e32 v5, v5, v6
	s_delay_alu instid0(VALU_DEP_1) | instskip(SKIP_1) | instid1(VALU_DEP_2)
	v_add_f32_e32 v6, 1.0, v5
	v_add_f32_e32 v11, -1.0, v5
	v_rcp_f32_e32 v10, v6
	s_waitcnt_depctr 0xfff
	v_mul_f32_e32 v12, v11, v10
	s_delay_alu instid0(VALU_DEP_1) | instskip(NEXT) | instid1(VALU_DEP_1)
	v_dual_add_f32 v13, -1.0, v6 :: v_dual_mul_f32 v14, v6, v12
	v_sub_f32_e32 v5, v5, v13
	v_cndmask_b32_e64 v7, v7, 1.0, vcc_lo
	s_delay_alu instid0(VALU_DEP_3) | instskip(NEXT) | instid1(VALU_DEP_2)
	v_fma_f32 v6, v12, v6, -v14
	v_cmp_eq_f32_e64 s5, 0, v7
	s_delay_alu instid0(VALU_DEP_2) | instskip(NEXT) | instid1(VALU_DEP_1)
	v_fmac_f32_e32 v6, v12, v5
	v_add_f32_e32 v5, v14, v6
	s_delay_alu instid0(VALU_DEP_1) | instskip(NEXT) | instid1(VALU_DEP_1)
	v_dual_sub_f32 v14, v5, v14 :: v_dual_sub_f32 v13, v11, v5
	v_dual_sub_f32 v6, v14, v6 :: v_dual_sub_f32 v11, v11, v13
	s_delay_alu instid0(VALU_DEP_1) | instskip(NEXT) | instid1(VALU_DEP_1)
	v_sub_f32_e32 v5, v11, v5
	v_add_f32_e32 v5, v6, v5
	s_delay_alu instid0(VALU_DEP_1) | instskip(NEXT) | instid1(VALU_DEP_1)
	v_add_f32_e32 v5, v13, v5
	v_mul_f32_e32 v5, v10, v5
	s_delay_alu instid0(VALU_DEP_1) | instskip(NEXT) | instid1(VALU_DEP_1)
	v_add_f32_e32 v10, v12, v5
	v_sub_f32_e32 v6, v10, v12
	v_mul_f32_e32 v11, v10, v10
	s_delay_alu instid0(VALU_DEP_2) | instskip(NEXT) | instid1(VALU_DEP_2)
	v_sub_f32_e32 v12, v5, v6
	v_fma_f32 v13, v10, v10, -v11
	s_delay_alu instid0(VALU_DEP_2) | instskip(NEXT) | instid1(VALU_DEP_1)
	v_add_f32_e32 v5, v12, v12
	v_fmac_f32_e32 v13, v10, v5
	v_cvt_f64_f32_e32 v[5:6], v9
	s_delay_alu instid0(VALU_DEP_2) | instskip(NEXT) | instid1(VALU_DEP_1)
	v_add_f32_e32 v14, v11, v13
	v_fmaak_f32 v15, s4, v14, 0x3e91f4c4
	v_sub_f32_e32 v11, v14, v11
	v_mul_f32_e32 v18, v10, v14
	s_delay_alu instid0(VALU_DEP_3) | instskip(NEXT) | instid1(VALU_DEP_3)
	v_fmaak_f32 v15, v14, v15, 0x3ecccdef
	v_sub_f32_e32 v11, v13, v11
	s_delay_alu instid0(VALU_DEP_2) | instskip(NEXT) | instid1(VALU_DEP_1)
	v_mul_f32_e32 v16, v14, v15
	v_fma_f32 v13, v14, v15, -v16
	s_delay_alu instid0(VALU_DEP_1) | instskip(NEXT) | instid1(VALU_DEP_1)
	v_fmac_f32_e32 v13, v11, v15
	v_add_f32_e32 v15, v16, v13
	v_frexp_exp_i32_f64_e32 v5, v[5:6]
	s_delay_alu instid0(VALU_DEP_2) | instskip(NEXT) | instid1(VALU_DEP_1)
	v_sub_f32_e32 v16, v15, v16
	v_sub_f32_e32 v6, v13, v16
	v_fma_f32 v16, v14, v10, -v18
	s_delay_alu instid0(VALU_DEP_2) | instskip(NEXT) | instid1(VALU_DEP_2)
	v_add_f32_e32 v6, 0x31739010, v6
	v_dual_add_f32 v17, 0x3f2aaaaa, v15 :: v_dual_fmac_f32 v16, v14, v12
	v_ldexp_f32 v12, v12, 1
	s_delay_alu instid0(VALU_DEP_2) | instskip(NEXT) | instid1(VALU_DEP_1)
	v_dual_add_f32 v13, 0xbf2aaaaa, v17 :: v_dual_fmac_f32 v16, v11, v10
	v_sub_f32_e32 v13, v15, v13
	s_delay_alu instid0(VALU_DEP_1) | instskip(NEXT) | instid1(VALU_DEP_3)
	v_add_f32_e32 v6, v6, v13
	v_add_f32_e32 v13, v18, v16
	s_delay_alu instid0(VALU_DEP_2) | instskip(NEXT) | instid1(VALU_DEP_1)
	v_add_f32_e32 v11, v17, v6
	v_sub_f32_e32 v14, v17, v11
	s_delay_alu instid0(VALU_DEP_3) | instskip(SKIP_2) | instid1(VALU_DEP_4)
	v_mul_f32_e32 v15, v13, v11
	v_sub_f32_e32 v17, v13, v18
	v_subrev_co_ci_u32_e64 v5, s3, 0, v5, s3
	v_add_f32_e32 v6, v6, v14
	s_delay_alu instid0(VALU_DEP_4) | instskip(NEXT) | instid1(VALU_DEP_4)
	v_fma_f32 v14, v13, v11, -v15
	v_sub_f32_e32 v16, v16, v17
	s_delay_alu instid0(VALU_DEP_4) | instskip(NEXT) | instid1(VALU_DEP_3)
	v_cvt_f32_i32_e32 v5, v5
	v_fmac_f32_e32 v14, v13, v6
	v_ldexp_f32 v6, v10, 1
	s_delay_alu instid0(VALU_DEP_2) | instskip(NEXT) | instid1(VALU_DEP_1)
	v_fmac_f32_e32 v14, v16, v11
	v_add_f32_e32 v10, v15, v14
	s_delay_alu instid0(VALU_DEP_1) | instskip(NEXT) | instid1(VALU_DEP_1)
	v_add_f32_e32 v11, v6, v10
	v_dual_sub_f32 v6, v11, v6 :: v_dual_sub_f32 v13, v10, v15
	s_delay_alu instid0(VALU_DEP_1) | instskip(NEXT) | instid1(VALU_DEP_2)
	v_sub_f32_e32 v6, v10, v6
	v_sub_f32_e32 v13, v14, v13
	s_delay_alu instid0(VALU_DEP_1) | instskip(NEXT) | instid1(VALU_DEP_1)
	v_add_f32_e32 v10, v12, v13
	v_dual_mul_f32 v15, 0x3f317218, v5 :: v_dual_add_f32 v6, v10, v6
	s_delay_alu instid0(VALU_DEP_1) | instskip(NEXT) | instid1(VALU_DEP_2)
	v_fma_f32 v14, 0x3f317218, v5, -v15
	v_add_f32_e32 v12, v11, v6
	s_delay_alu instid0(VALU_DEP_1) | instskip(NEXT) | instid1(VALU_DEP_1)
	v_sub_f32_e32 v11, v12, v11
	v_dual_fmamk_f32 v5, v5, 0xb102e308, v14 :: v_dual_sub_f32 v6, v6, v11
	s_delay_alu instid0(VALU_DEP_1) | instskip(NEXT) | instid1(VALU_DEP_1)
	v_add_f32_e32 v10, v15, v5
	v_add_f32_e32 v13, v10, v12
	s_delay_alu instid0(VALU_DEP_1) | instskip(NEXT) | instid1(VALU_DEP_1)
	v_dual_sub_f32 v15, v10, v15 :: v_dual_sub_f32 v14, v13, v10
	v_sub_f32_e32 v16, v13, v14
	s_delay_alu instid0(VALU_DEP_2) | instskip(NEXT) | instid1(VALU_DEP_2)
	v_sub_f32_e32 v5, v5, v15
	v_dual_sub_f32 v11, v12, v14 :: v_dual_sub_f32 v10, v10, v16
	s_delay_alu instid0(VALU_DEP_2) | instskip(NEXT) | instid1(VALU_DEP_2)
	v_add_f32_e32 v12, v5, v6
	v_add_f32_e32 v10, v11, v10
	s_delay_alu instid0(VALU_DEP_1) | instskip(NEXT) | instid1(VALU_DEP_1)
	v_add_f32_e32 v10, v12, v10
	v_dual_sub_f32 v11, v12, v5 :: v_dual_add_f32 v14, v13, v10
	s_delay_alu instid0(VALU_DEP_1) | instskip(SKIP_1) | instid1(VALU_DEP_3)
	v_sub_f32_e32 v12, v12, v11
	v_sub_f32_e32 v6, v6, v11
	v_sub_f32_e32 v11, v14, v13
	s_delay_alu instid0(VALU_DEP_3) | instskip(NEXT) | instid1(VALU_DEP_1)
	v_sub_f32_e32 v5, v5, v12
	v_add_f32_e32 v5, v6, v5
	s_delay_alu instid0(VALU_DEP_3) | instskip(NEXT) | instid1(VALU_DEP_1)
	v_sub_f32_e32 v6, v10, v11
	v_add_f32_e32 v5, v5, v6
	s_delay_alu instid0(VALU_DEP_1) | instskip(NEXT) | instid1(VALU_DEP_1)
	v_add_f32_e32 v6, v14, v5
	v_mul_f32_e32 v11, v8, v6
	v_sub_f32_e32 v10, v6, v14
	s_delay_alu instid0(VALU_DEP_2) | instskip(NEXT) | instid1(VALU_DEP_2)
	v_fma_f32 v6, v8, v6, -v11
	v_sub_f32_e32 v5, v5, v10
	v_cmp_class_f32_e64 s3, v11, 0x204
	s_delay_alu instid0(VALU_DEP_2) | instskip(NEXT) | instid1(VALU_DEP_1)
	v_fmac_f32_e32 v6, v8, v5
	v_add_f32_e32 v5, v11, v6
	s_delay_alu instid0(VALU_DEP_1) | instskip(NEXT) | instid1(VALU_DEP_1)
	v_cndmask_b32_e64 v10, v5, v11, s3
	v_cmp_eq_f32_e64 s3, 0x42b17218, v10
	s_delay_alu instid0(VALU_DEP_1) | instskip(SKIP_1) | instid1(VALU_DEP_2)
	v_cndmask_b32_e64 v12, 0, 0x37000000, s3
	v_cmp_neq_f32_e64 s3, 0x7f800000, |v10|
	v_sub_f32_e32 v13, v10, v12
	v_trunc_f32_e32 v10, v8
	s_delay_alu instid0(VALU_DEP_2) | instskip(NEXT) | instid1(VALU_DEP_1)
	v_mul_f32_e32 v14, 0x3fb8aa3b, v13
	v_fma_f32 v15, 0x3fb8aa3b, v13, -v14
	v_rndne_f32_e32 v16, v14
	s_delay_alu instid0(VALU_DEP_1) | instskip(NEXT) | instid1(VALU_DEP_1)
	v_dual_fmamk_f32 v15, v13, 0x32a5705f, v15 :: v_dual_sub_f32 v14, v14, v16
	v_add_f32_e32 v14, v14, v15
	v_sub_f32_e32 v5, v5, v11
	v_cvt_i32_f32_e32 v11, v16
	s_delay_alu instid0(VALU_DEP_3) | instskip(NEXT) | instid1(VALU_DEP_2)
	v_exp_f32_e32 v14, v14
	v_sub_f32_e32 v5, v6, v5
	s_delay_alu instid0(VALU_DEP_1)
	v_cndmask_b32_e64 v5, 0, v5, s3
	v_cmp_ngt_f32_e64 s3, 0xc2ce8ed0, v13
	s_waitcnt_depctr 0xfff
	v_ldexp_f32 v6, v14, v11
	v_mul_f32_e32 v11, 0.5, v8
	v_add_f32_e32 v5, v12, v5
	s_delay_alu instid0(VALU_DEP_3) | instskip(NEXT) | instid1(VALU_DEP_3)
	v_cndmask_b32_e64 v6, 0, v6, s3
	v_trunc_f32_e32 v14, v11
	v_cmp_nlt_f32_e64 s3, 0x42b17218, v13
	s_delay_alu instid0(VALU_DEP_2) | instskip(NEXT) | instid1(VALU_DEP_2)
	v_cmp_neq_f32_e64 s4, v14, v11
	v_cndmask_b32_e64 v6, 0x7f800000, v6, s3
	v_cmp_eq_f32_e64 s3, v10, v8
	s_delay_alu instid0(VALU_DEP_2) | instskip(NEXT) | instid1(VALU_DEP_2)
	v_fma_f32 v5, v6, v5, v6
	s_and_b32 vcc_lo, s3, s4
	v_cmp_class_f32_e64 s4, v6, 0x204
	v_cndmask_b32_e32 v10, 1.0, v7, vcc_lo
	s_delay_alu instid0(VALU_DEP_2) | instskip(SKIP_1) | instid1(VALU_DEP_2)
	v_cndmask_b32_e64 v5, v5, v6, s4
	v_cmp_gt_f32_e64 s4, 0, v8
	v_bfi_b32 v5, 0x7fffffff, v5, v10
	s_delay_alu instid0(VALU_DEP_2)
	s_xor_b32 s4, s4, s5
	v_cndmask_b32_e32 v10, 0, v7, vcc_lo
	v_cndmask_b32_e64 v6, 0x7f800000, 0, s4
	v_cmp_eq_f32_e32 vcc_lo, 0x7f800000, v9
	v_cndmask_b32_e64 v8, 0x7fc00000, v5, s3
	v_cmp_gt_f32_e64 s3, 0, v7
	s_delay_alu instid0(VALU_DEP_4) | instskip(SKIP_1) | instid1(VALU_DEP_2)
	v_bfi_b32 v6, 0x7fffffff, v6, v10
	s_or_b32 vcc_lo, vcc_lo, s5
	v_cndmask_b32_e64 v5, v5, v8, s3
	s_delay_alu instid0(VALU_DEP_1) | instskip(SKIP_1) | instid1(VALU_DEP_2)
	v_cndmask_b32_e32 v5, v5, v6, vcc_lo
	v_cmp_o_f32_e32 vcc_lo, v7, v7
	v_cndmask_b32_e32 v6, 0x7fc00000, v5, vcc_lo
.LBB8_8:
	s_load_b256 s[4:11], s[0:1], 0x0
	s_waitcnt lgkmcnt(0)
	s_cmp_lg_u64 s[8:9], 0
	s_cselect_b32 s12, -1, 0
	s_cmp_eq_u64 s[8:9], 0
	s_cbranch_scc1 .LBB8_12
; %bb.9:
	s_lshl_b64 s[0:1], s[14:15], 2
	s_delay_alu instid0(SALU_CYCLE_1)
	s_add_u32 s0, s8, s0
	s_addc_u32 s1, s9, s1
	s_load_b32 s0, s[0:1], 0x0
	s_branch .LBB8_13
.LBB8_10:
                                        ; implicit-def: $vgpr1_vgpr2
	s_branch .LBB8_2
.LBB8_11:
                                        ; implicit-def: $vgpr3_vgpr4
	s_branch .LBB8_5
.LBB8_12:
	s_mov_b32 s0, 0xff800000
.LBB8_13:
	s_mul_i32 s1, s25, s2
	v_dual_mov_b32 v8, 0 :: v_dual_lshlrev_b32 v5, 2, v0
	s_add_i32 s1, s1, s14
	s_delay_alu instid0(SALU_CYCLE_1) | instskip(NEXT) | instid1(SALU_CYCLE_1)
	s_mul_i32 s1, s1, s24
	s_add_i32 s2, s1, s13
	s_delay_alu instid0(SALU_CYCLE_1) | instskip(NEXT) | instid1(SALU_CYCLE_1)
	s_ashr_i32 s3, s2, 31
	s_lshl_b64 s[24:25], s[2:3], 10
	s_delay_alu instid0(SALU_CYCLE_1)
	s_add_u32 s4, s4, s24
	s_addc_u32 s5, s5, s25
	s_cmp_eq_u64 s[6:7], 0
	global_load_b32 v7, v5, s[4:5]
	s_cselect_b32 s1, -1, 0
	s_cmp_lg_u64 s[6:7], 0
	s_cbranch_scc0 .LBB8_15
; %bb.14:
	v_mul_lo_u32 v8, v1, s19
	v_mul_hi_u32 v9, v1, s18
	v_mul_lo_u32 v10, v3, s21
	v_mul_hi_u32 v11, v3, s20
	v_mul_lo_u32 v2, v2, s18
	v_mul_lo_u32 v1, v1, s18
	;; [unrolled: 1-line block ×4, first 2 shown]
	s_mul_i32 s4, s17, s13
	v_add_nc_u32_e32 v8, v9, v8
	s_mul_hi_u32 s5, s16, s13
	v_add_nc_u32_e32 v9, v11, v10
	s_mul_i32 s13, s16, s13
	s_add_i32 s5, s5, s4
	v_add_nc_u32_e32 v2, v8, v2
	v_add_co_u32 v1, vcc_lo, v1, s13
	v_add_nc_u32_e32 v4, v9, v4
	s_delay_alu instid0(VALU_DEP_3) | instskip(NEXT) | instid1(VALU_DEP_3)
	v_add_co_ci_u32_e32 v2, vcc_lo, s5, v2, vcc_lo
	v_add_co_u32 v1, vcc_lo, v1, v3
	v_lshlrev_b32_e32 v3, 1, v0
	s_delay_alu instid0(VALU_DEP_3) | instskip(NEXT) | instid1(VALU_DEP_1)
	v_add_co_ci_u32_e32 v2, vcc_lo, v2, v4, vcc_lo
	v_lshrrev_b64 v[1:2], 1, v[1:2]
	s_delay_alu instid0(VALU_DEP_1) | instskip(NEXT) | instid1(VALU_DEP_2)
	v_cndmask_b32_e64 v2, v2, 0, s1
	v_cndmask_b32_e64 v1, v1, 0, s1
	s_delay_alu instid0(VALU_DEP_1) | instskip(NEXT) | instid1(VALU_DEP_1)
	v_lshlrev_b64 v[1:2], 1, v[1:2]
	v_add_co_u32 v1, vcc_lo, s6, v1
	s_delay_alu instid0(VALU_DEP_2) | instskip(NEXT) | instid1(VALU_DEP_2)
	v_add_co_ci_u32_e32 v2, vcc_lo, s7, v2, vcc_lo
	v_readfirstlane_b32 s4, v1
	s_delay_alu instid0(VALU_DEP_2) | instskip(SKIP_3) | instid1(VALU_DEP_1)
	v_readfirstlane_b32 s5, v2
	global_load_u16 v1, v3, s[4:5]
	s_waitcnt vmcnt(0)
	v_cvt_f32_f16_e32 v1, v1
	v_mul_f32_e32 v8, v6, v1
.LBB8_15:
	v_mbcnt_lo_u32_b32 v1, -1, 0
	s_waitcnt lgkmcnt(0)
	v_max_f32_e64 v3, s0, s0
	s_delay_alu instid0(VALU_DEP_2) | instskip(SKIP_1) | instid1(VALU_DEP_2)
	v_xor_b32_e32 v2, 16, v1
	v_xor_b32_e32 v6, 8, v1
	v_cmp_gt_i32_e32 vcc_lo, 32, v2
	v_cndmask_b32_e32 v2, v1, v2, vcc_lo
	s_delay_alu instid0(VALU_DEP_3) | instskip(NEXT) | instid1(VALU_DEP_2)
	v_cmp_gt_i32_e32 vcc_lo, 32, v6
	v_lshlrev_b32_e32 v2, 2, v2
	v_cndmask_b32_e32 v6, v1, v6, vcc_lo
	s_waitcnt vmcnt(0)
	v_fmac_f32_e32 v8, s22, v7
	s_delay_alu instid0(VALU_DEP_1) | instskip(SKIP_3) | instid1(VALU_DEP_1)
	v_max_f32_e32 v4, v3, v8
	ds_bpermute_b32 v3, v2, v4
	s_waitcnt lgkmcnt(0)
	v_max_f32_e32 v7, v3, v3
	v_dual_max_f32 v6, v4, v7 :: v_dual_lshlrev_b32 v3, 2, v6
	v_xor_b32_e32 v7, 4, v1
	ds_bpermute_b32 v4, v3, v6
	v_cmp_gt_i32_e32 vcc_lo, 32, v7
	v_cndmask_b32_e32 v7, v1, v7, vcc_lo
	s_waitcnt lgkmcnt(0)
	s_delay_alu instid0(VALU_DEP_1) | instskip(NEXT) | instid1(VALU_DEP_1)
	v_dual_max_f32 v9, v4, v4 :: v_dual_lshlrev_b32 v4, 2, v7
	v_max_f32_e32 v7, v6, v9
	v_xor_b32_e32 v9, 2, v1
	ds_bpermute_b32 v6, v4, v7
	v_cmp_gt_i32_e32 vcc_lo, 32, v9
	s_waitcnt lgkmcnt(0)
	v_dual_cndmask_b32 v9, v1, v9 :: v_dual_max_f32 v10, v6, v6
	s_delay_alu instid0(VALU_DEP_1)
	v_dual_max_f32 v7, v7, v10 :: v_dual_lshlrev_b32 v6, 2, v9
	v_xor_b32_e32 v10, 1, v1
	ds_bpermute_b32 v9, v6, v7
	v_cmp_gt_i32_e32 vcc_lo, 32, v10
	s_waitcnt lgkmcnt(0)
	v_max_f32_e32 v9, v9, v9
	s_delay_alu instid0(VALU_DEP_1) | instskip(NEXT) | instid1(VALU_DEP_1)
	v_dual_cndmask_b32 v1, v1, v10 :: v_dual_max_f32 v10, v7, v9
	v_lshlrev_b32_e32 v7, 2, v1
	v_and_b32_e32 v9, 31, v0
	v_lshl_add_u32 v1, v0, 2, 0
	v_lshrrev_b32_e32 v0, 3, v0
	ds_bpermute_b32 v11, v7, v10
	v_cmp_eq_u32_e32 vcc_lo, 0, v9
	ds_store_b32 v1, v8 offset:128
	s_and_saveexec_b32 s0, vcc_lo
	s_delay_alu instid0(SALU_CYCLE_1)
	s_xor_b32 s0, exec_lo, s0
	s_cbranch_execz .LBB8_17
; %bb.16:
	s_waitcnt lgkmcnt(1)
	v_max_f32_e32 v8, v11, v11
	v_max_f32_e32 v10, v10, v10
	s_delay_alu instid0(VALU_DEP_1)
	v_max_f32_e32 v8, v10, v8
	v_add_nc_u32_e32 v10, 0, v0
	ds_store_b32 v10, v8
.LBB8_17:
	s_or_b32 exec_lo, exec_lo, s0
	v_cmp_gt_u32_e64 s0, 8, v9
	v_mov_b32_e32 v10, 0xff800000
	v_lshl_add_u32 v8, v9, 2, 0
	s_waitcnt lgkmcnt(0)
	s_barrier
	buffer_gl0_inv
	s_and_saveexec_b32 s1, s0
	s_cbranch_execz .LBB8_19
; %bb.18:
	ds_load_b32 v10, v8
.LBB8_19:
	s_or_b32 exec_lo, exec_lo, s1
	s_waitcnt lgkmcnt(0)
	ds_bpermute_b32 v9, v2, v10
	v_max_f32_e32 v10, v10, v10
	ds_load_b32 v11, v1 offset:128
	s_waitcnt lgkmcnt(1)
	v_max_f32_e32 v9, v9, v9
	s_delay_alu instid0(VALU_DEP_1) | instskip(SKIP_3) | instid1(VALU_DEP_1)
	v_max_f32_e32 v9, v10, v9
	ds_bpermute_b32 v10, v3, v9
	s_waitcnt lgkmcnt(0)
	v_max_f32_e32 v10, v10, v10
	v_max_f32_e32 v9, v9, v10
	ds_bpermute_b32 v10, v4, v9
	s_waitcnt lgkmcnt(0)
	v_max_f32_e32 v10, v10, v10
	s_delay_alu instid0(VALU_DEP_1) | instskip(SKIP_3) | instid1(VALU_DEP_1)
	v_max_f32_e32 v9, v9, v10
	ds_bpermute_b32 v10, v6, v9
	s_waitcnt lgkmcnt(0)
	v_max_f32_e32 v10, v10, v10
	v_max_f32_e32 v9, v9, v10
	ds_bpermute_b32 v10, v7, v9
	s_waitcnt lgkmcnt(0)
	v_max_f32_e32 v10, v10, v10
	s_delay_alu instid0(VALU_DEP_1) | instskip(NEXT) | instid1(VALU_DEP_1)
	v_max_f32_e32 v9, v9, v10
	v_sub_f32_e32 v10, v11, v9
	s_delay_alu instid0(VALU_DEP_1) | instskip(SKIP_1) | instid1(VALU_DEP_2)
	v_mul_f32_e32 v11, 0x3fb8aa3b, v10
	v_cmp_ngt_f32_e64 s1, 0xc2ce8ed0, v10
	v_fma_f32 v12, 0x3fb8aa3b, v10, -v11
	v_rndne_f32_e32 v13, v11
	s_delay_alu instid0(VALU_DEP_1) | instskip(NEXT) | instid1(VALU_DEP_1)
	v_dual_fmamk_f32 v12, v10, 0x32a5705f, v12 :: v_dual_sub_f32 v11, v11, v13
	v_add_f32_e32 v11, v11, v12
	v_cvt_i32_f32_e32 v12, v13
	s_delay_alu instid0(VALU_DEP_2) | instskip(SKIP_2) | instid1(VALU_DEP_1)
	v_exp_f32_e32 v11, v11
	s_waitcnt_depctr 0xfff
	v_ldexp_f32 v11, v11, v12
	v_cndmask_b32_e64 v11, 0, v11, s1
	v_cmp_nlt_f32_e64 s1, 0x42b17218, v10
	s_delay_alu instid0(VALU_DEP_1)
	v_cndmask_b32_e64 v12, 0x7f800000, v11, s1
	ds_bpermute_b32 v10, v2, v12
	ds_store_b32 v1, v12 offset:128
	s_waitcnt lgkmcnt(1)
	v_add_f32_e32 v10, v12, v10
	ds_bpermute_b32 v11, v3, v10
	s_waitcnt lgkmcnt(0)
	v_add_f32_e32 v10, v10, v11
	ds_bpermute_b32 v11, v4, v10
	s_waitcnt lgkmcnt(0)
	v_add_f32_e32 v10, v10, v11
	ds_bpermute_b32 v11, v6, v10
	s_waitcnt lgkmcnt(0)
	v_add_f32_e32 v10, v10, v11
	ds_bpermute_b32 v11, v7, v10
	s_and_saveexec_b32 s1, vcc_lo
	s_cbranch_execz .LBB8_21
; %bb.20:
	s_waitcnt lgkmcnt(0)
	v_add_f32_e32 v10, v10, v11
	v_add_nc_u32_e32 v0, 0, v0
	ds_store_b32 v0, v10
.LBB8_21:
	s_or_b32 exec_lo, exec_lo, s1
	v_mov_b32_e32 v0, 0
	s_waitcnt lgkmcnt(0)
	s_barrier
	buffer_gl0_inv
	s_and_saveexec_b32 s1, s0
	s_cbranch_execz .LBB8_23
; %bb.22:
	ds_load_b32 v0, v8
.LBB8_23:
	s_or_b32 exec_lo, exec_lo, s1
	s_waitcnt lgkmcnt(0)
	ds_bpermute_b32 v2, v2, v0
	s_and_not1_b32 vcc_lo, exec_lo, s12
	s_lshl_b64 s[0:1], s[2:3], 8
	s_waitcnt lgkmcnt(0)
	v_add_f32_e32 v0, v0, v2
	ds_bpermute_b32 v2, v3, v0
	s_waitcnt lgkmcnt(0)
	v_add_f32_e32 v0, v0, v2
	ds_bpermute_b32 v2, v4, v0
	;; [unrolled: 3-line block ×4, first 2 shown]
	s_waitcnt lgkmcnt(0)
	v_add_f32_e32 v0, v0, v2
	s_cbranch_vccnz .LBB8_25
; %bb.24:
	s_lshl_b64 s[2:3], s[14:15], 2
	s_delay_alu instid0(SALU_CYCLE_1) | instskip(SKIP_4) | instid1(VALU_DEP_1)
	s_add_u32 s2, s8, s2
	s_addc_u32 s3, s9, s3
	s_load_b32 s2, s[2:3], 0x0
	s_waitcnt lgkmcnt(0)
	v_sub_f32_e32 v2, s2, v9
	v_mul_f32_e32 v3, 0x3fb8aa3b, v2
	s_delay_alu instid0(VALU_DEP_1) | instskip(SKIP_1) | instid1(VALU_DEP_1)
	v_fma_f32 v4, 0x3fb8aa3b, v2, -v3
	v_rndne_f32_e32 v6, v3
	v_sub_f32_e32 v3, v3, v6
	v_cmp_ngt_f32_e32 vcc_lo, 0xc2ce8ed0, v2
	s_delay_alu instid0(VALU_DEP_4) | instskip(NEXT) | instid1(VALU_DEP_1)
	v_fmamk_f32 v4, v2, 0x32a5705f, v4
	v_add_f32_e32 v3, v3, v4
	v_cvt_i32_f32_e32 v4, v6
	s_delay_alu instid0(VALU_DEP_2) | instskip(SKIP_2) | instid1(VALU_DEP_1)
	v_exp_f32_e32 v3, v3
	s_waitcnt_depctr 0xfff
	v_ldexp_f32 v3, v3, v4
	v_cndmask_b32_e32 v3, 0, v3, vcc_lo
	v_cmp_nlt_f32_e32 vcc_lo, 0x42b17218, v2
	s_delay_alu instid0(VALU_DEP_2) | instskip(NEXT) | instid1(VALU_DEP_1)
	v_cndmask_b32_e32 v2, 0x7f800000, v3, vcc_lo
	v_add_f32_e32 v0, v0, v2
.LBB8_25:
	s_delay_alu instid0(VALU_DEP_1) | instskip(SKIP_4) | instid1(SALU_CYCLE_1)
	v_div_scale_f32 v2, null, v0, v0, 1.0
	v_div_scale_f32 v6, vcc_lo, 1.0, v0, 1.0
	ds_load_b32 v1, v1 offset:128
	v_rcp_f32_e32 v3, v2
	s_lshl_b64 s[0:1], s[0:1], 2
	s_add_u32 s0, s10, s0
	s_addc_u32 s1, s11, s1
	s_waitcnt_depctr 0xfff
	v_fma_f32 v4, -v2, v3, 1.0
	s_delay_alu instid0(VALU_DEP_1) | instskip(NEXT) | instid1(VALU_DEP_1)
	v_fmac_f32_e32 v3, v4, v3
	v_mul_f32_e32 v4, v6, v3
	s_delay_alu instid0(VALU_DEP_1) | instskip(NEXT) | instid1(VALU_DEP_1)
	v_fma_f32 v7, -v2, v4, v6
	v_fmac_f32_e32 v4, v7, v3
	s_delay_alu instid0(VALU_DEP_1) | instskip(NEXT) | instid1(VALU_DEP_1)
	v_fma_f32 v2, -v2, v4, v6
	v_div_fmas_f32 v2, v2, v3, v4
	s_delay_alu instid0(VALU_DEP_1) | instskip(SKIP_1) | instid1(VALU_DEP_1)
	v_div_fixup_f32 v0, v2, v0, 1.0
	s_waitcnt lgkmcnt(0)
	v_mul_f32_e32 v0, v1, v0
	global_store_b32 v5, v0, s[0:1]
	s_nop 0
	s_sendmsg sendmsg(MSG_DEALLOC_VGPRS)
	s_endpgm
	.section	.rodata,"a",@progbits
	.p2align	6, 0x0
	.amdhsa_kernel _ZL12soft_max_f32ILb1ELi256ELi256E6__halfEvPKfPKT2_S2_Pf15soft_max_params
		.amdhsa_group_segment_fixed_size 0
		.amdhsa_private_segment_fixed_size 0
		.amdhsa_kernarg_size 416
		.amdhsa_user_sgpr_count 13
		.amdhsa_user_sgpr_dispatch_ptr 0
		.amdhsa_user_sgpr_queue_ptr 0
		.amdhsa_user_sgpr_kernarg_segment_ptr 1
		.amdhsa_user_sgpr_dispatch_id 0
		.amdhsa_user_sgpr_private_segment_size 0
		.amdhsa_wavefront_size32 1
		.amdhsa_uses_dynamic_stack 0
		.amdhsa_enable_private_segment 0
		.amdhsa_system_sgpr_workgroup_id_x 1
		.amdhsa_system_sgpr_workgroup_id_y 1
		.amdhsa_system_sgpr_workgroup_id_z 1
		.amdhsa_system_sgpr_workgroup_info 0
		.amdhsa_system_vgpr_workitem_id 0
		.amdhsa_next_free_vgpr 19
		.amdhsa_next_free_sgpr 28
		.amdhsa_reserve_vcc 1
		.amdhsa_float_round_mode_32 0
		.amdhsa_float_round_mode_16_64 0
		.amdhsa_float_denorm_mode_32 3
		.amdhsa_float_denorm_mode_16_64 3
		.amdhsa_dx10_clamp 1
		.amdhsa_ieee_mode 1
		.amdhsa_fp16_overflow 0
		.amdhsa_workgroup_processor_mode 1
		.amdhsa_memory_ordered 1
		.amdhsa_forward_progress 0
		.amdhsa_shared_vgpr_count 0
		.amdhsa_exception_fp_ieee_invalid_op 0
		.amdhsa_exception_fp_denorm_src 0
		.amdhsa_exception_fp_ieee_div_zero 0
		.amdhsa_exception_fp_ieee_overflow 0
		.amdhsa_exception_fp_ieee_underflow 0
		.amdhsa_exception_fp_ieee_inexact 0
		.amdhsa_exception_int_div_zero 0
	.end_amdhsa_kernel
	.section	.text._ZL12soft_max_f32ILb1ELi256ELi256E6__halfEvPKfPKT2_S2_Pf15soft_max_params,"axG",@progbits,_ZL12soft_max_f32ILb1ELi256ELi256E6__halfEvPKfPKT2_S2_Pf15soft_max_params,comdat
.Lfunc_end8:
	.size	_ZL12soft_max_f32ILb1ELi256ELi256E6__halfEvPKfPKT2_S2_Pf15soft_max_params, .Lfunc_end8-_ZL12soft_max_f32ILb1ELi256ELi256E6__halfEvPKfPKT2_S2_Pf15soft_max_params
                                        ; -- End function
	.section	.AMDGPU.csdata,"",@progbits
; Kernel info:
; codeLenInByte = 4304
; NumSgprs: 30
; NumVgprs: 19
; ScratchSize: 0
; MemoryBound: 0
; FloatMode: 240
; IeeeMode: 1
; LDSByteSize: 0 bytes/workgroup (compile time only)
; SGPRBlocks: 3
; VGPRBlocks: 2
; NumSGPRsForWavesPerEU: 30
; NumVGPRsForWavesPerEU: 19
; Occupancy: 16
; WaveLimiterHint : 1
; COMPUTE_PGM_RSRC2:SCRATCH_EN: 0
; COMPUTE_PGM_RSRC2:USER_SGPR: 13
; COMPUTE_PGM_RSRC2:TRAP_HANDLER: 0
; COMPUTE_PGM_RSRC2:TGID_X_EN: 1
; COMPUTE_PGM_RSRC2:TGID_Y_EN: 1
; COMPUTE_PGM_RSRC2:TGID_Z_EN: 1
; COMPUTE_PGM_RSRC2:TIDIG_COMP_CNT: 0
	.section	.text._ZL12soft_max_f32ILb1ELi128ELi128E6__halfEvPKfPKT2_S2_Pf15soft_max_params,"axG",@progbits,_ZL12soft_max_f32ILb1ELi128ELi128E6__halfEvPKfPKT2_S2_Pf15soft_max_params,comdat
	.globl	_ZL12soft_max_f32ILb1ELi128ELi128E6__halfEvPKfPKT2_S2_Pf15soft_max_params ; -- Begin function _ZL12soft_max_f32ILb1ELi128ELi128E6__halfEvPKfPKT2_S2_Pf15soft_max_params
	.p2align	8
	.type	_ZL12soft_max_f32ILb1ELi128ELi128E6__halfEvPKfPKT2_S2_Pf15soft_max_params,@function
_ZL12soft_max_f32ILb1ELi128ELi128E6__halfEvPKfPKT2_S2_Pf15soft_max_params: ; @_ZL12soft_max_f32ILb1ELi128ELi128E6__halfEvPKfPKT2_S2_Pf15soft_max_params
; %bb.0:
	s_clause 0x1
	s_load_b256 s[16:23], s[0:1], 0x68
	s_load_b64 s[4:5], s[0:1], 0x88
	s_mov_b32 s2, s15
	s_mov_b32 s15, 0
	s_delay_alu instid0(SALU_CYCLE_1) | instskip(SKIP_2) | instid1(SALU_CYCLE_1)
	s_mov_b32 s6, s15
	s_waitcnt lgkmcnt(0)
	s_mov_b32 s7, s23
	s_cmp_lg_u64 s[6:7], 0
	s_cbranch_scc0 .LBB9_10
; %bb.1:
	s_ashr_i32 s6, s23, 31
	s_delay_alu instid0(SALU_CYCLE_1) | instskip(SKIP_2) | instid1(SALU_CYCLE_1)
	s_add_u32 s8, s22, s6
	s_mov_b32 s7, s6
	s_addc_u32 s9, s23, s6
	s_xor_b64 s[6:7], s[8:9], s[6:7]
	s_delay_alu instid0(SALU_CYCLE_1) | instskip(SKIP_3) | instid1(VALU_DEP_1)
	v_cvt_f32_u32_e32 v1, s6
	v_cvt_f32_u32_e32 v2, s7
	s_sub_u32 s9, 0, s6
	s_subb_u32 s10, 0, s7
	v_fmamk_f32 v1, v2, 0x4f800000, v1
	s_delay_alu instid0(VALU_DEP_1) | instskip(SKIP_2) | instid1(VALU_DEP_1)
	v_rcp_f32_e32 v1, v1
	s_waitcnt_depctr 0xfff
	v_mul_f32_e32 v1, 0x5f7ffffc, v1
	v_mul_f32_e32 v2, 0x2f800000, v1
	s_delay_alu instid0(VALU_DEP_1) | instskip(NEXT) | instid1(VALU_DEP_1)
	v_trunc_f32_e32 v2, v2
	v_fmamk_f32 v1, v2, 0xcf800000, v1
	v_cvt_u32_f32_e32 v2, v2
	s_delay_alu instid0(VALU_DEP_2) | instskip(NEXT) | instid1(VALU_DEP_2)
	v_cvt_u32_f32_e32 v1, v1
	v_readfirstlane_b32 s3, v2
	s_delay_alu instid0(VALU_DEP_2) | instskip(NEXT) | instid1(VALU_DEP_2)
	v_readfirstlane_b32 s8, v1
	s_mul_i32 s11, s9, s3
	s_delay_alu instid0(VALU_DEP_1)
	s_mul_hi_u32 s23, s9, s8
	s_mul_i32 s12, s10, s8
	s_add_i32 s11, s23, s11
	s_mul_i32 s24, s9, s8
	s_add_i32 s11, s11, s12
	s_mul_hi_u32 s23, s8, s24
	s_mul_hi_u32 s25, s3, s24
	s_mul_i32 s12, s3, s24
	s_mul_hi_u32 s24, s8, s11
	s_mul_i32 s8, s8, s11
	s_mul_hi_u32 s26, s3, s11
	s_add_u32 s8, s23, s8
	s_addc_u32 s23, 0, s24
	s_add_u32 s8, s8, s12
	s_mul_i32 s11, s3, s11
	s_addc_u32 s8, s23, s25
	s_addc_u32 s12, s26, 0
	s_add_u32 s8, s8, s11
	s_addc_u32 s11, 0, s12
	v_add_co_u32 v1, s8, v1, s8
	s_delay_alu instid0(VALU_DEP_1) | instskip(SKIP_1) | instid1(VALU_DEP_1)
	s_cmp_lg_u32 s8, 0
	s_addc_u32 s3, s3, s11
	v_readfirstlane_b32 s8, v1
	s_mul_i32 s11, s9, s3
	s_delay_alu instid0(VALU_DEP_1)
	s_mul_hi_u32 s12, s9, s8
	s_mul_i32 s10, s10, s8
	s_add_i32 s11, s12, s11
	s_mul_i32 s9, s9, s8
	s_add_i32 s11, s11, s10
	s_mul_hi_u32 s12, s3, s9
	s_mul_i32 s23, s3, s9
	s_mul_hi_u32 s9, s8, s9
	s_mul_hi_u32 s24, s8, s11
	s_mul_i32 s8, s8, s11
	s_mul_hi_u32 s10, s3, s11
	s_add_u32 s8, s9, s8
	s_addc_u32 s9, 0, s24
	s_add_u32 s8, s8, s23
	s_mul_i32 s11, s3, s11
	s_addc_u32 s8, s9, s12
	s_addc_u32 s9, s10, 0
	s_add_u32 s8, s8, s11
	s_addc_u32 s9, 0, s9
	v_add_co_u32 v1, s8, v1, s8
	s_delay_alu instid0(VALU_DEP_1) | instskip(SKIP_1) | instid1(VALU_DEP_1)
	s_cmp_lg_u32 s8, 0
	s_addc_u32 s3, s3, s9
	v_readfirstlane_b32 s8, v1
	s_mul_i32 s9, s14, s3
	s_mul_hi_u32 s3, s14, s3
	s_delay_alu instid0(VALU_DEP_1) | instskip(NEXT) | instid1(SALU_CYCLE_1)
	s_mul_hi_u32 s8, s14, s8
	s_add_u32 s8, s8, s9
	s_addc_u32 s3, 0, s3
	s_add_u32 s8, s8, 0
	s_addc_u32 s3, s3, 0
	s_addc_u32 s8, 0, 0
	s_add_u32 s3, s3, 0
	s_addc_u32 s8, 0, s8
	s_mul_hi_u32 s9, s6, s3
	s_mul_i32 s8, s6, s8
	s_mul_i32 s10, s7, s3
	;; [unrolled: 1-line block ×3, first 2 shown]
	s_add_i32 s8, s9, s8
	v_sub_co_u32 v1, s3, s14, s3
	s_add_i32 s8, s8, s10
	s_delay_alu instid0(SALU_CYCLE_1) | instskip(SKIP_1) | instid1(VALU_DEP_1)
	s_sub_i32 s9, 0, s8
	s_cmp_lg_u32 s3, 0
	v_sub_co_u32 v2, s10, v1, s6
	s_subb_u32 s9, s9, s7
	s_cmp_lg_u32 s10, 0
	s_subb_u32 s11, s9, 0
	s_delay_alu instid0(VALU_DEP_1)
	v_cmp_le_u32_e32 vcc_lo, s6, v2
	s_cmp_ge_u32 s11, s7
	s_cselect_b32 s12, -1, 0
	s_cmp_eq_u32 s11, s7
	v_cndmask_b32_e64 v3, 0, -1, vcc_lo
	s_cselect_b32 vcc_lo, -1, 0
	s_cmp_lg_u32 s10, 0
	v_sub_co_u32 v4, s10, v2, s6
	s_subb_u32 s9, s9, s7
	s_cmp_lg_u32 s10, 0
	v_cndmask_b32_e32 v3, s12, v3, vcc_lo
	s_subb_u32 s9, s9, 0
	s_cmp_lg_u32 s3, 0
	v_cmp_le_u32_e32 vcc_lo, s6, v1
	s_subb_u32 s8, 0, s8
	s_delay_alu instid0(SALU_CYCLE_1)
	s_cmp_ge_u32 s8, s7
	v_cndmask_b32_e64 v5, 0, -1, vcc_lo
	s_cselect_b32 s6, -1, 0
	s_cmp_eq_u32 s8, s7
	v_cmp_ne_u32_e32 vcc_lo, 0, v3
	v_mov_b32_e32 v3, s9
	s_cselect_b32 s3, -1, 0
	s_delay_alu instid0(SALU_CYCLE_1) | instskip(SKIP_1) | instid1(VALU_DEP_3)
	v_cndmask_b32_e64 v5, s6, v5, s3
	v_cndmask_b32_e32 v2, v2, v4, vcc_lo
	v_cndmask_b32_e32 v3, s11, v3, vcc_lo
	s_mov_b32 s3, s15
	s_delay_alu instid0(VALU_DEP_3) | instskip(NEXT) | instid1(VALU_DEP_3)
	v_cmp_ne_u32_e32 vcc_lo, 0, v5
	v_cndmask_b32_e32 v1, v1, v2, vcc_lo
	s_delay_alu instid0(VALU_DEP_3) | instskip(NEXT) | instid1(VALU_DEP_2)
	v_cndmask_b32_e32 v3, s8, v3, vcc_lo
	v_sub_co_u32 v1, vcc_lo, v1, 0
	s_delay_alu instid0(VALU_DEP_2)
	v_subrev_co_ci_u32_e32 v2, vcc_lo, 0, v3, vcc_lo
	s_and_not1_b32 vcc_lo, exec_lo, s3
	s_cbranch_vccnz .LBB9_3
.LBB9_2:
	v_cvt_f32_u32_e32 v1, s22
	s_mov_b32 s7, 0
	s_sub_i32 s6, 0, s22
	s_delay_alu instid0(VALU_DEP_1) | instskip(SKIP_2) | instid1(VALU_DEP_1)
	v_rcp_iflag_f32_e32 v1, v1
	s_waitcnt_depctr 0xfff
	v_mul_f32_e32 v1, 0x4f7ffffe, v1
	v_cvt_u32_f32_e32 v1, v1
	s_delay_alu instid0(VALU_DEP_1) | instskip(NEXT) | instid1(VALU_DEP_1)
	v_readfirstlane_b32 s3, v1
	s_mul_i32 s6, s6, s3
	s_delay_alu instid0(SALU_CYCLE_1) | instskip(NEXT) | instid1(SALU_CYCLE_1)
	s_mul_hi_u32 s6, s3, s6
	s_add_i32 s3, s3, s6
	s_delay_alu instid0(SALU_CYCLE_1) | instskip(NEXT) | instid1(SALU_CYCLE_1)
	s_mul_hi_u32 s3, s14, s3
	s_mul_i32 s3, s3, s22
	s_delay_alu instid0(SALU_CYCLE_1) | instskip(NEXT) | instid1(SALU_CYCLE_1)
	s_sub_i32 s3, s14, s3
	s_sub_i32 s6, s3, s22
	s_cmp_ge_u32 s3, s22
	s_cselect_b32 s3, s6, s3
	s_delay_alu instid0(SALU_CYCLE_1) | instskip(SKIP_2) | instid1(SALU_CYCLE_1)
	s_sub_i32 s6, s3, s22
	s_cmp_ge_u32 s3, s22
	s_cselect_b32 s6, s6, s3
	v_dual_mov_b32 v1, s6 :: v_dual_mov_b32 v2, s7
.LBB9_3:
	s_load_b64 s[22:23], s[0:1], 0x90
	s_mov_b32 s6, 0
	s_mov_b32 s7, s5
	s_delay_alu instid0(SALU_CYCLE_1)
	s_cmp_lg_u64 s[6:7], 0
	s_cbranch_scc0 .LBB9_11
; %bb.4:
	s_ashr_i32 s8, s5, 31
	s_delay_alu instid0(SALU_CYCLE_1) | instskip(SKIP_2) | instid1(SALU_CYCLE_1)
	s_add_u32 s10, s4, s8
	s_mov_b32 s9, s8
	s_addc_u32 s11, s5, s8
	s_xor_b64 s[8:9], s[10:11], s[8:9]
	s_delay_alu instid0(SALU_CYCLE_1) | instskip(SKIP_3) | instid1(VALU_DEP_1)
	v_cvt_f32_u32_e32 v3, s8
	v_cvt_f32_u32_e32 v4, s9
	s_sub_u32 s7, 0, s8
	s_subb_u32 s10, 0, s9
	v_fmamk_f32 v3, v4, 0x4f800000, v3
	s_delay_alu instid0(VALU_DEP_1) | instskip(SKIP_2) | instid1(VALU_DEP_1)
	v_rcp_f32_e32 v3, v3
	s_waitcnt_depctr 0xfff
	v_mul_f32_e32 v3, 0x5f7ffffc, v3
	v_mul_f32_e32 v4, 0x2f800000, v3
	s_delay_alu instid0(VALU_DEP_1) | instskip(NEXT) | instid1(VALU_DEP_1)
	v_trunc_f32_e32 v4, v4
	v_fmamk_f32 v3, v4, 0xcf800000, v3
	v_cvt_u32_f32_e32 v4, v4
	s_delay_alu instid0(VALU_DEP_2) | instskip(NEXT) | instid1(VALU_DEP_2)
	v_cvt_u32_f32_e32 v3, v3
	v_readfirstlane_b32 s3, v4
	s_delay_alu instid0(VALU_DEP_2) | instskip(NEXT) | instid1(VALU_DEP_2)
	v_readfirstlane_b32 s5, v3
	s_mul_i32 s11, s7, s3
	s_delay_alu instid0(VALU_DEP_1)
	s_mul_hi_u32 s24, s7, s5
	s_mul_i32 s12, s10, s5
	s_add_i32 s11, s24, s11
	s_mul_i32 s25, s7, s5
	s_add_i32 s11, s11, s12
	s_mul_hi_u32 s24, s5, s25
	s_mul_hi_u32 s26, s3, s25
	s_mul_i32 s12, s3, s25
	s_mul_hi_u32 s25, s5, s11
	s_mul_i32 s5, s5, s11
	s_mul_hi_u32 s27, s3, s11
	s_add_u32 s5, s24, s5
	s_addc_u32 s24, 0, s25
	s_add_u32 s5, s5, s12
	s_mul_i32 s11, s3, s11
	s_addc_u32 s5, s24, s26
	s_addc_u32 s12, s27, 0
	s_add_u32 s5, s5, s11
	s_addc_u32 s11, 0, s12
	v_add_co_u32 v3, s5, v3, s5
	s_delay_alu instid0(VALU_DEP_1) | instskip(SKIP_1) | instid1(VALU_DEP_1)
	s_cmp_lg_u32 s5, 0
	s_addc_u32 s3, s3, s11
	v_readfirstlane_b32 s5, v3
	s_mul_i32 s11, s7, s3
	s_delay_alu instid0(VALU_DEP_1)
	s_mul_hi_u32 s12, s7, s5
	s_mul_i32 s10, s10, s5
	s_add_i32 s11, s12, s11
	s_mul_i32 s7, s7, s5
	s_add_i32 s11, s11, s10
	s_mul_hi_u32 s12, s3, s7
	s_mul_i32 s24, s3, s7
	s_mul_hi_u32 s7, s5, s7
	s_mul_hi_u32 s25, s5, s11
	s_mul_i32 s5, s5, s11
	s_mul_hi_u32 s10, s3, s11
	s_add_u32 s5, s7, s5
	s_addc_u32 s7, 0, s25
	s_add_u32 s5, s5, s24
	s_mul_i32 s11, s3, s11
	s_addc_u32 s5, s7, s12
	s_addc_u32 s7, s10, 0
	s_add_u32 s5, s5, s11
	s_addc_u32 s7, 0, s7
	v_add_co_u32 v3, s5, v3, s5
	s_delay_alu instid0(VALU_DEP_1) | instskip(SKIP_1) | instid1(VALU_DEP_1)
	s_cmp_lg_u32 s5, 0
	s_addc_u32 s3, s3, s7
	v_readfirstlane_b32 s5, v3
	s_mul_i32 s7, s2, s3
	s_mul_hi_u32 s3, s2, s3
	s_delay_alu instid0(VALU_DEP_1) | instskip(NEXT) | instid1(SALU_CYCLE_1)
	s_mul_hi_u32 s5, s2, s5
	s_add_u32 s5, s5, s7
	s_addc_u32 s3, 0, s3
	s_add_u32 s5, s5, 0
	s_addc_u32 s3, s3, 0
	s_addc_u32 s5, 0, 0
	s_add_u32 s3, s3, 0
	s_addc_u32 s5, 0, s5
	s_mul_hi_u32 s7, s8, s3
	s_mul_i32 s5, s8, s5
	s_mul_i32 s10, s9, s3
	;; [unrolled: 1-line block ×3, first 2 shown]
	s_add_i32 s5, s7, s5
	v_sub_co_u32 v3, s3, s2, s3
	s_add_i32 s5, s5, s10
	s_delay_alu instid0(SALU_CYCLE_1) | instskip(SKIP_1) | instid1(VALU_DEP_1)
	s_sub_i32 s7, 0, s5
	s_cmp_lg_u32 s3, 0
	v_sub_co_u32 v4, s10, v3, s8
	s_subb_u32 s7, s7, s9
	s_cmp_lg_u32 s10, 0
	s_subb_u32 s11, s7, 0
	s_delay_alu instid0(VALU_DEP_1)
	v_cmp_le_u32_e32 vcc_lo, s8, v4
	s_cmp_ge_u32 s11, s9
	s_cselect_b32 s12, -1, 0
	s_cmp_eq_u32 s11, s9
	v_cndmask_b32_e64 v5, 0, -1, vcc_lo
	s_cselect_b32 vcc_lo, -1, 0
	s_cmp_lg_u32 s10, 0
	v_sub_co_u32 v6, s10, v4, s8
	s_subb_u32 s7, s7, s9
	s_cmp_lg_u32 s10, 0
	v_cndmask_b32_e32 v5, s12, v5, vcc_lo
	s_subb_u32 s7, s7, 0
	s_cmp_lg_u32 s3, 0
	v_cmp_le_u32_e32 vcc_lo, s8, v3
	s_subb_u32 s5, 0, s5
	s_delay_alu instid0(SALU_CYCLE_1)
	s_cmp_ge_u32 s5, s9
	v_cndmask_b32_e64 v7, 0, -1, vcc_lo
	s_cselect_b32 s8, -1, 0
	s_cmp_eq_u32 s5, s9
	v_cmp_ne_u32_e32 vcc_lo, 0, v5
	v_mov_b32_e32 v5, s7
	s_cselect_b32 s3, -1, 0
	s_delay_alu instid0(SALU_CYCLE_1) | instskip(SKIP_1) | instid1(VALU_DEP_3)
	v_cndmask_b32_e64 v7, s8, v7, s3
	v_cndmask_b32_e32 v4, v4, v6, vcc_lo
	v_cndmask_b32_e32 v5, s11, v5, vcc_lo
	s_delay_alu instid0(VALU_DEP_3) | instskip(NEXT) | instid1(VALU_DEP_3)
	v_cmp_ne_u32_e32 vcc_lo, 0, v7
	v_cndmask_b32_e32 v3, v3, v4, vcc_lo
	s_delay_alu instid0(VALU_DEP_3) | instskip(NEXT) | instid1(VALU_DEP_2)
	v_cndmask_b32_e32 v5, s5, v5, vcc_lo
	v_sub_co_u32 v3, vcc_lo, v3, 0
	s_delay_alu instid0(VALU_DEP_2)
	v_subrev_co_ci_u32_e32 v4, vcc_lo, 0, v5, vcc_lo
	s_and_not1_b32 vcc_lo, exec_lo, s6
	s_cbranch_vccnz .LBB9_6
.LBB9_5:
	v_cvt_f32_u32_e32 v3, s4
	s_sub_i32 s5, 0, s4
	s_delay_alu instid0(VALU_DEP_1) | instskip(SKIP_2) | instid1(VALU_DEP_1)
	v_rcp_iflag_f32_e32 v3, v3
	s_waitcnt_depctr 0xfff
	v_mul_f32_e32 v3, 0x4f7ffffe, v3
	v_cvt_u32_f32_e32 v3, v3
	s_delay_alu instid0(VALU_DEP_1) | instskip(NEXT) | instid1(VALU_DEP_1)
	v_readfirstlane_b32 s3, v3
	s_mul_i32 s5, s5, s3
	s_delay_alu instid0(SALU_CYCLE_1) | instskip(NEXT) | instid1(SALU_CYCLE_1)
	s_mul_hi_u32 s5, s3, s5
	s_add_i32 s3, s3, s5
	s_delay_alu instid0(SALU_CYCLE_1) | instskip(NEXT) | instid1(SALU_CYCLE_1)
	s_mul_hi_u32 s3, s2, s3
	s_mul_i32 s3, s3, s4
	s_delay_alu instid0(SALU_CYCLE_1) | instskip(NEXT) | instid1(SALU_CYCLE_1)
	s_sub_i32 s3, s2, s3
	s_sub_i32 s5, s3, s4
	s_cmp_ge_u32 s3, s4
	s_cselect_b32 s3, s5, s3
	s_mov_b32 s5, 0
	s_sub_i32 s6, s3, s4
	s_cmp_ge_u32 s3, s4
	s_cselect_b32 s4, s6, s3
	s_delay_alu instid0(SALU_CYCLE_1)
	v_dual_mov_b32 v3, s4 :: v_dual_mov_b32 v4, s5
.LBB9_6:
	s_load_b64 s[24:25], s[0:1], 0xa0
	s_waitcnt lgkmcnt(0)
	v_cmp_le_f32_e64 s3, s23, 0
	v_mov_b32_e32 v6, 1.0
	s_delay_alu instid0(VALU_DEP_2)
	s_and_b32 vcc_lo, exec_lo, s3
	s_cbranch_vccnz .LBB9_8
; %bb.7:
	s_clause 0x1
	s_load_b32 s3, s[0:1], 0x28
	s_load_b64 s[4:5], s[0:1], 0x98
	s_add_i32 s7, s14, 1
	s_waitcnt lgkmcnt(0)
	s_sub_i32 s6, s14, s3
	v_mov_b32_e32 v5, s4
	s_lshl_b32 s6, s6, 1
	s_delay_alu instid0(SALU_CYCLE_1)
	s_or_b32 s4, s6, 1
	s_cmp_lt_u32 s14, s3
	s_cselect_b32 vcc_lo, -1, 0
	v_cndmask_b32_e32 v7, s5, v5, vcc_lo
	s_and_b32 s3, vcc_lo, exec_lo
	s_cselect_b32 s3, s7, s4
	s_mov_b32 s4, 0x3e76c4e1
	v_cvt_f32_i32_e32 v5, s3
	v_cmp_neq_f32_e32 vcc_lo, 1.0, v7
	s_delay_alu instid0(VALU_DEP_2) | instskip(NEXT) | instid1(VALU_DEP_1)
	v_cndmask_b32_e32 v8, 1.0, v5, vcc_lo
	v_cmp_eq_f32_e32 vcc_lo, 0, v8
	v_cndmask_b32_e64 v9, |v7|, 1.0, vcc_lo
	s_delay_alu instid0(VALU_DEP_1) | instskip(NEXT) | instid1(VALU_DEP_1)
	v_frexp_mant_f32_e32 v5, v9
	v_cmp_gt_f32_e64 s3, 0x3f2aaaab, v5
	s_delay_alu instid0(VALU_DEP_1) | instskip(NEXT) | instid1(VALU_DEP_1)
	v_cndmask_b32_e64 v6, 1.0, 2.0, s3
	v_mul_f32_e32 v5, v5, v6
	s_delay_alu instid0(VALU_DEP_1) | instskip(SKIP_1) | instid1(VALU_DEP_2)
	v_add_f32_e32 v6, 1.0, v5
	v_add_f32_e32 v11, -1.0, v5
	v_rcp_f32_e32 v10, v6
	s_waitcnt_depctr 0xfff
	v_mul_f32_e32 v12, v11, v10
	s_delay_alu instid0(VALU_DEP_1) | instskip(NEXT) | instid1(VALU_DEP_1)
	v_dual_add_f32 v13, -1.0, v6 :: v_dual_mul_f32 v14, v6, v12
	v_sub_f32_e32 v5, v5, v13
	v_cndmask_b32_e64 v7, v7, 1.0, vcc_lo
	s_delay_alu instid0(VALU_DEP_3) | instskip(NEXT) | instid1(VALU_DEP_2)
	v_fma_f32 v6, v12, v6, -v14
	v_cmp_eq_f32_e64 s5, 0, v7
	s_delay_alu instid0(VALU_DEP_2) | instskip(NEXT) | instid1(VALU_DEP_1)
	v_fmac_f32_e32 v6, v12, v5
	v_add_f32_e32 v5, v14, v6
	s_delay_alu instid0(VALU_DEP_1) | instskip(NEXT) | instid1(VALU_DEP_1)
	v_dual_sub_f32 v14, v5, v14 :: v_dual_sub_f32 v13, v11, v5
	v_dual_sub_f32 v6, v14, v6 :: v_dual_sub_f32 v11, v11, v13
	s_delay_alu instid0(VALU_DEP_1) | instskip(NEXT) | instid1(VALU_DEP_1)
	v_sub_f32_e32 v5, v11, v5
	v_add_f32_e32 v5, v6, v5
	s_delay_alu instid0(VALU_DEP_1) | instskip(NEXT) | instid1(VALU_DEP_1)
	v_add_f32_e32 v5, v13, v5
	v_mul_f32_e32 v5, v10, v5
	s_delay_alu instid0(VALU_DEP_1) | instskip(NEXT) | instid1(VALU_DEP_1)
	v_add_f32_e32 v10, v12, v5
	v_sub_f32_e32 v6, v10, v12
	v_mul_f32_e32 v11, v10, v10
	s_delay_alu instid0(VALU_DEP_2) | instskip(NEXT) | instid1(VALU_DEP_2)
	v_sub_f32_e32 v12, v5, v6
	v_fma_f32 v13, v10, v10, -v11
	s_delay_alu instid0(VALU_DEP_2) | instskip(NEXT) | instid1(VALU_DEP_1)
	v_add_f32_e32 v5, v12, v12
	v_fmac_f32_e32 v13, v10, v5
	v_cvt_f64_f32_e32 v[5:6], v9
	s_delay_alu instid0(VALU_DEP_2) | instskip(NEXT) | instid1(VALU_DEP_1)
	v_add_f32_e32 v14, v11, v13
	v_fmaak_f32 v15, s4, v14, 0x3e91f4c4
	v_sub_f32_e32 v11, v14, v11
	v_mul_f32_e32 v18, v10, v14
	s_delay_alu instid0(VALU_DEP_3) | instskip(NEXT) | instid1(VALU_DEP_3)
	v_fmaak_f32 v15, v14, v15, 0x3ecccdef
	v_sub_f32_e32 v11, v13, v11
	s_delay_alu instid0(VALU_DEP_2) | instskip(NEXT) | instid1(VALU_DEP_1)
	v_mul_f32_e32 v16, v14, v15
	v_fma_f32 v13, v14, v15, -v16
	s_delay_alu instid0(VALU_DEP_1) | instskip(NEXT) | instid1(VALU_DEP_1)
	v_fmac_f32_e32 v13, v11, v15
	v_add_f32_e32 v15, v16, v13
	v_frexp_exp_i32_f64_e32 v5, v[5:6]
	s_delay_alu instid0(VALU_DEP_2) | instskip(NEXT) | instid1(VALU_DEP_1)
	v_sub_f32_e32 v16, v15, v16
	v_sub_f32_e32 v6, v13, v16
	v_fma_f32 v16, v14, v10, -v18
	s_delay_alu instid0(VALU_DEP_2) | instskip(NEXT) | instid1(VALU_DEP_2)
	v_add_f32_e32 v6, 0x31739010, v6
	v_dual_add_f32 v17, 0x3f2aaaaa, v15 :: v_dual_fmac_f32 v16, v14, v12
	v_ldexp_f32 v12, v12, 1
	s_delay_alu instid0(VALU_DEP_2) | instskip(NEXT) | instid1(VALU_DEP_1)
	v_dual_add_f32 v13, 0xbf2aaaaa, v17 :: v_dual_fmac_f32 v16, v11, v10
	v_sub_f32_e32 v13, v15, v13
	s_delay_alu instid0(VALU_DEP_1) | instskip(NEXT) | instid1(VALU_DEP_3)
	v_add_f32_e32 v6, v6, v13
	v_add_f32_e32 v13, v18, v16
	s_delay_alu instid0(VALU_DEP_2) | instskip(NEXT) | instid1(VALU_DEP_1)
	v_add_f32_e32 v11, v17, v6
	v_sub_f32_e32 v14, v17, v11
	s_delay_alu instid0(VALU_DEP_3) | instskip(SKIP_2) | instid1(VALU_DEP_4)
	v_mul_f32_e32 v15, v13, v11
	v_sub_f32_e32 v17, v13, v18
	v_subrev_co_ci_u32_e64 v5, s3, 0, v5, s3
	v_add_f32_e32 v6, v6, v14
	s_delay_alu instid0(VALU_DEP_4) | instskip(NEXT) | instid1(VALU_DEP_4)
	v_fma_f32 v14, v13, v11, -v15
	v_sub_f32_e32 v16, v16, v17
	s_delay_alu instid0(VALU_DEP_4) | instskip(NEXT) | instid1(VALU_DEP_3)
	v_cvt_f32_i32_e32 v5, v5
	v_fmac_f32_e32 v14, v13, v6
	v_ldexp_f32 v6, v10, 1
	s_delay_alu instid0(VALU_DEP_2) | instskip(NEXT) | instid1(VALU_DEP_1)
	v_fmac_f32_e32 v14, v16, v11
	v_add_f32_e32 v10, v15, v14
	s_delay_alu instid0(VALU_DEP_1) | instskip(NEXT) | instid1(VALU_DEP_1)
	v_add_f32_e32 v11, v6, v10
	v_dual_sub_f32 v6, v11, v6 :: v_dual_sub_f32 v13, v10, v15
	s_delay_alu instid0(VALU_DEP_1) | instskip(NEXT) | instid1(VALU_DEP_2)
	v_sub_f32_e32 v6, v10, v6
	v_sub_f32_e32 v13, v14, v13
	s_delay_alu instid0(VALU_DEP_1) | instskip(NEXT) | instid1(VALU_DEP_1)
	v_add_f32_e32 v10, v12, v13
	v_dual_mul_f32 v15, 0x3f317218, v5 :: v_dual_add_f32 v6, v10, v6
	s_delay_alu instid0(VALU_DEP_1) | instskip(NEXT) | instid1(VALU_DEP_2)
	v_fma_f32 v14, 0x3f317218, v5, -v15
	v_add_f32_e32 v12, v11, v6
	s_delay_alu instid0(VALU_DEP_1) | instskip(NEXT) | instid1(VALU_DEP_1)
	v_sub_f32_e32 v11, v12, v11
	v_dual_fmamk_f32 v5, v5, 0xb102e308, v14 :: v_dual_sub_f32 v6, v6, v11
	s_delay_alu instid0(VALU_DEP_1) | instskip(NEXT) | instid1(VALU_DEP_1)
	v_add_f32_e32 v10, v15, v5
	v_add_f32_e32 v13, v10, v12
	s_delay_alu instid0(VALU_DEP_1) | instskip(NEXT) | instid1(VALU_DEP_1)
	v_dual_sub_f32 v15, v10, v15 :: v_dual_sub_f32 v14, v13, v10
	v_sub_f32_e32 v16, v13, v14
	s_delay_alu instid0(VALU_DEP_2) | instskip(NEXT) | instid1(VALU_DEP_2)
	v_sub_f32_e32 v5, v5, v15
	v_dual_sub_f32 v11, v12, v14 :: v_dual_sub_f32 v10, v10, v16
	s_delay_alu instid0(VALU_DEP_2) | instskip(NEXT) | instid1(VALU_DEP_2)
	v_add_f32_e32 v12, v5, v6
	v_add_f32_e32 v10, v11, v10
	s_delay_alu instid0(VALU_DEP_1) | instskip(NEXT) | instid1(VALU_DEP_1)
	v_add_f32_e32 v10, v12, v10
	v_dual_sub_f32 v11, v12, v5 :: v_dual_add_f32 v14, v13, v10
	s_delay_alu instid0(VALU_DEP_1) | instskip(SKIP_1) | instid1(VALU_DEP_3)
	v_sub_f32_e32 v12, v12, v11
	v_sub_f32_e32 v6, v6, v11
	;; [unrolled: 1-line block ×3, first 2 shown]
	s_delay_alu instid0(VALU_DEP_3) | instskip(NEXT) | instid1(VALU_DEP_1)
	v_sub_f32_e32 v5, v5, v12
	v_add_f32_e32 v5, v6, v5
	s_delay_alu instid0(VALU_DEP_3) | instskip(NEXT) | instid1(VALU_DEP_1)
	v_sub_f32_e32 v6, v10, v11
	v_add_f32_e32 v5, v5, v6
	s_delay_alu instid0(VALU_DEP_1) | instskip(NEXT) | instid1(VALU_DEP_1)
	v_add_f32_e32 v6, v14, v5
	v_mul_f32_e32 v11, v8, v6
	v_sub_f32_e32 v10, v6, v14
	s_delay_alu instid0(VALU_DEP_2) | instskip(NEXT) | instid1(VALU_DEP_2)
	v_fma_f32 v6, v8, v6, -v11
	v_sub_f32_e32 v5, v5, v10
	v_cmp_class_f32_e64 s3, v11, 0x204
	s_delay_alu instid0(VALU_DEP_2) | instskip(NEXT) | instid1(VALU_DEP_1)
	v_fmac_f32_e32 v6, v8, v5
	v_add_f32_e32 v5, v11, v6
	s_delay_alu instid0(VALU_DEP_1) | instskip(NEXT) | instid1(VALU_DEP_1)
	v_cndmask_b32_e64 v10, v5, v11, s3
	v_cmp_eq_f32_e64 s3, 0x42b17218, v10
	s_delay_alu instid0(VALU_DEP_1) | instskip(SKIP_1) | instid1(VALU_DEP_2)
	v_cndmask_b32_e64 v12, 0, 0x37000000, s3
	v_cmp_neq_f32_e64 s3, 0x7f800000, |v10|
	v_sub_f32_e32 v13, v10, v12
	v_trunc_f32_e32 v10, v8
	s_delay_alu instid0(VALU_DEP_2) | instskip(NEXT) | instid1(VALU_DEP_1)
	v_mul_f32_e32 v14, 0x3fb8aa3b, v13
	v_fma_f32 v15, 0x3fb8aa3b, v13, -v14
	v_rndne_f32_e32 v16, v14
	s_delay_alu instid0(VALU_DEP_1) | instskip(NEXT) | instid1(VALU_DEP_1)
	v_dual_fmamk_f32 v15, v13, 0x32a5705f, v15 :: v_dual_sub_f32 v14, v14, v16
	v_add_f32_e32 v14, v14, v15
	v_sub_f32_e32 v5, v5, v11
	v_cvt_i32_f32_e32 v11, v16
	s_delay_alu instid0(VALU_DEP_3) | instskip(NEXT) | instid1(VALU_DEP_2)
	v_exp_f32_e32 v14, v14
	v_sub_f32_e32 v5, v6, v5
	s_delay_alu instid0(VALU_DEP_1)
	v_cndmask_b32_e64 v5, 0, v5, s3
	v_cmp_ngt_f32_e64 s3, 0xc2ce8ed0, v13
	s_waitcnt_depctr 0xfff
	v_ldexp_f32 v6, v14, v11
	v_mul_f32_e32 v11, 0.5, v8
	v_add_f32_e32 v5, v12, v5
	s_delay_alu instid0(VALU_DEP_3) | instskip(NEXT) | instid1(VALU_DEP_3)
	v_cndmask_b32_e64 v6, 0, v6, s3
	v_trunc_f32_e32 v14, v11
	v_cmp_nlt_f32_e64 s3, 0x42b17218, v13
	s_delay_alu instid0(VALU_DEP_2) | instskip(NEXT) | instid1(VALU_DEP_2)
	v_cmp_neq_f32_e64 s4, v14, v11
	v_cndmask_b32_e64 v6, 0x7f800000, v6, s3
	v_cmp_eq_f32_e64 s3, v10, v8
	s_delay_alu instid0(VALU_DEP_2) | instskip(NEXT) | instid1(VALU_DEP_2)
	v_fma_f32 v5, v6, v5, v6
	s_and_b32 vcc_lo, s3, s4
	v_cmp_class_f32_e64 s4, v6, 0x204
	v_cndmask_b32_e32 v10, 1.0, v7, vcc_lo
	s_delay_alu instid0(VALU_DEP_2) | instskip(SKIP_1) | instid1(VALU_DEP_2)
	v_cndmask_b32_e64 v5, v5, v6, s4
	v_cmp_gt_f32_e64 s4, 0, v8
	v_bfi_b32 v5, 0x7fffffff, v5, v10
	s_delay_alu instid0(VALU_DEP_2)
	s_xor_b32 s4, s4, s5
	v_cndmask_b32_e32 v10, 0, v7, vcc_lo
	v_cndmask_b32_e64 v6, 0x7f800000, 0, s4
	v_cmp_eq_f32_e32 vcc_lo, 0x7f800000, v9
	v_cndmask_b32_e64 v8, 0x7fc00000, v5, s3
	v_cmp_gt_f32_e64 s3, 0, v7
	s_delay_alu instid0(VALU_DEP_4) | instskip(SKIP_1) | instid1(VALU_DEP_2)
	v_bfi_b32 v6, 0x7fffffff, v6, v10
	s_or_b32 vcc_lo, vcc_lo, s5
	v_cndmask_b32_e64 v5, v5, v8, s3
	s_delay_alu instid0(VALU_DEP_1) | instskip(SKIP_1) | instid1(VALU_DEP_2)
	v_cndmask_b32_e32 v5, v5, v6, vcc_lo
	v_cmp_o_f32_e32 vcc_lo, v7, v7
	v_cndmask_b32_e32 v6, 0x7fc00000, v5, vcc_lo
.LBB9_8:
	s_load_b256 s[4:11], s[0:1], 0x0
	s_waitcnt lgkmcnt(0)
	s_cmp_lg_u64 s[8:9], 0
	s_cselect_b32 s12, -1, 0
	s_cmp_eq_u64 s[8:9], 0
	s_cbranch_scc1 .LBB9_12
; %bb.9:
	s_lshl_b64 s[0:1], s[14:15], 2
	s_delay_alu instid0(SALU_CYCLE_1)
	s_add_u32 s0, s8, s0
	s_addc_u32 s1, s9, s1
	s_load_b32 s0, s[0:1], 0x0
	s_branch .LBB9_13
.LBB9_10:
                                        ; implicit-def: $vgpr1_vgpr2
	s_branch .LBB9_2
.LBB9_11:
                                        ; implicit-def: $vgpr3_vgpr4
	s_branch .LBB9_5
.LBB9_12:
	s_mov_b32 s0, 0xff800000
.LBB9_13:
	s_mul_i32 s1, s25, s2
	v_dual_mov_b32 v8, 0 :: v_dual_lshlrev_b32 v5, 2, v0
	s_add_i32 s1, s1, s14
	s_delay_alu instid0(SALU_CYCLE_1) | instskip(NEXT) | instid1(SALU_CYCLE_1)
	s_mul_i32 s1, s1, s24
	s_add_i32 s2, s1, s13
	s_delay_alu instid0(SALU_CYCLE_1) | instskip(NEXT) | instid1(SALU_CYCLE_1)
	s_ashr_i32 s3, s2, 31
	s_lshl_b64 s[24:25], s[2:3], 9
	s_delay_alu instid0(SALU_CYCLE_1)
	s_add_u32 s4, s4, s24
	s_addc_u32 s5, s5, s25
	s_cmp_eq_u64 s[6:7], 0
	global_load_b32 v7, v5, s[4:5]
	s_cselect_b32 s1, -1, 0
	s_cmp_lg_u64 s[6:7], 0
	s_cbranch_scc0 .LBB9_15
; %bb.14:
	v_mul_lo_u32 v8, v1, s19
	v_mul_hi_u32 v9, v1, s18
	v_mul_lo_u32 v10, v3, s21
	v_mul_hi_u32 v11, v3, s20
	v_mul_lo_u32 v2, v2, s18
	v_mul_lo_u32 v1, v1, s18
	;; [unrolled: 1-line block ×4, first 2 shown]
	s_mul_i32 s4, s17, s13
	v_add_nc_u32_e32 v8, v9, v8
	s_mul_hi_u32 s5, s16, s13
	v_add_nc_u32_e32 v9, v11, v10
	s_mul_i32 s13, s16, s13
	s_add_i32 s5, s5, s4
	v_add_nc_u32_e32 v2, v8, v2
	v_add_co_u32 v1, vcc_lo, v1, s13
	v_add_nc_u32_e32 v4, v9, v4
	s_delay_alu instid0(VALU_DEP_3) | instskip(NEXT) | instid1(VALU_DEP_3)
	v_add_co_ci_u32_e32 v2, vcc_lo, s5, v2, vcc_lo
	v_add_co_u32 v1, vcc_lo, v1, v3
	v_lshlrev_b32_e32 v3, 1, v0
	s_delay_alu instid0(VALU_DEP_3) | instskip(NEXT) | instid1(VALU_DEP_1)
	v_add_co_ci_u32_e32 v2, vcc_lo, v2, v4, vcc_lo
	v_lshrrev_b64 v[1:2], 1, v[1:2]
	s_delay_alu instid0(VALU_DEP_1) | instskip(NEXT) | instid1(VALU_DEP_2)
	v_cndmask_b32_e64 v2, v2, 0, s1
	v_cndmask_b32_e64 v1, v1, 0, s1
	s_delay_alu instid0(VALU_DEP_1) | instskip(NEXT) | instid1(VALU_DEP_1)
	v_lshlrev_b64 v[1:2], 1, v[1:2]
	v_add_co_u32 v1, vcc_lo, s6, v1
	s_delay_alu instid0(VALU_DEP_2) | instskip(NEXT) | instid1(VALU_DEP_2)
	v_add_co_ci_u32_e32 v2, vcc_lo, s7, v2, vcc_lo
	v_readfirstlane_b32 s4, v1
	s_delay_alu instid0(VALU_DEP_2) | instskip(SKIP_3) | instid1(VALU_DEP_1)
	v_readfirstlane_b32 s5, v2
	global_load_u16 v1, v3, s[4:5]
	s_waitcnt vmcnt(0)
	v_cvt_f32_f16_e32 v1, v1
	v_mul_f32_e32 v8, v6, v1
.LBB9_15:
	v_mbcnt_lo_u32_b32 v1, -1, 0
	s_waitcnt lgkmcnt(0)
	v_max_f32_e64 v3, s0, s0
	s_delay_alu instid0(VALU_DEP_2) | instskip(SKIP_1) | instid1(VALU_DEP_2)
	v_xor_b32_e32 v2, 16, v1
	v_xor_b32_e32 v6, 8, v1
	v_cmp_gt_i32_e32 vcc_lo, 32, v2
	v_cndmask_b32_e32 v2, v1, v2, vcc_lo
	s_delay_alu instid0(VALU_DEP_3) | instskip(NEXT) | instid1(VALU_DEP_2)
	v_cmp_gt_i32_e32 vcc_lo, 32, v6
	v_lshlrev_b32_e32 v2, 2, v2
	v_cndmask_b32_e32 v6, v1, v6, vcc_lo
	s_waitcnt vmcnt(0)
	v_fmac_f32_e32 v8, s22, v7
	s_delay_alu instid0(VALU_DEP_1) | instskip(SKIP_3) | instid1(VALU_DEP_1)
	v_max_f32_e32 v4, v3, v8
	ds_bpermute_b32 v3, v2, v4
	s_waitcnt lgkmcnt(0)
	v_max_f32_e32 v7, v3, v3
	v_dual_max_f32 v6, v4, v7 :: v_dual_lshlrev_b32 v3, 2, v6
	v_xor_b32_e32 v7, 4, v1
	ds_bpermute_b32 v4, v3, v6
	v_cmp_gt_i32_e32 vcc_lo, 32, v7
	v_cndmask_b32_e32 v7, v1, v7, vcc_lo
	s_waitcnt lgkmcnt(0)
	s_delay_alu instid0(VALU_DEP_1) | instskip(NEXT) | instid1(VALU_DEP_1)
	v_dual_max_f32 v9, v4, v4 :: v_dual_lshlrev_b32 v4, 2, v7
	v_max_f32_e32 v7, v6, v9
	v_xor_b32_e32 v9, 2, v1
	ds_bpermute_b32 v6, v4, v7
	v_cmp_gt_i32_e32 vcc_lo, 32, v9
	s_waitcnt lgkmcnt(0)
	v_dual_cndmask_b32 v9, v1, v9 :: v_dual_max_f32 v10, v6, v6
	s_delay_alu instid0(VALU_DEP_1)
	v_dual_max_f32 v7, v7, v10 :: v_dual_lshlrev_b32 v6, 2, v9
	v_xor_b32_e32 v10, 1, v1
	ds_bpermute_b32 v9, v6, v7
	v_cmp_gt_i32_e32 vcc_lo, 32, v10
	s_waitcnt lgkmcnt(0)
	v_max_f32_e32 v9, v9, v9
	s_delay_alu instid0(VALU_DEP_1) | instskip(NEXT) | instid1(VALU_DEP_1)
	v_dual_cndmask_b32 v1, v1, v10 :: v_dual_max_f32 v10, v7, v9
	v_lshlrev_b32_e32 v7, 2, v1
	v_and_b32_e32 v9, 31, v0
	v_lshl_add_u32 v1, v0, 2, 0
	v_lshrrev_b32_e32 v0, 3, v0
	ds_bpermute_b32 v11, v7, v10
	v_cmp_eq_u32_e32 vcc_lo, 0, v9
	ds_store_b32 v1, v8 offset:128
	s_and_saveexec_b32 s0, vcc_lo
	s_delay_alu instid0(SALU_CYCLE_1)
	s_xor_b32 s0, exec_lo, s0
	s_cbranch_execz .LBB9_17
; %bb.16:
	s_waitcnt lgkmcnt(1)
	v_max_f32_e32 v8, v11, v11
	v_max_f32_e32 v10, v10, v10
	s_delay_alu instid0(VALU_DEP_1)
	v_max_f32_e32 v8, v10, v8
	v_add_nc_u32_e32 v10, 0, v0
	ds_store_b32 v10, v8
.LBB9_17:
	s_or_b32 exec_lo, exec_lo, s0
	v_cmp_gt_u32_e64 s0, 4, v9
	v_mov_b32_e32 v10, 0xff800000
	v_lshl_add_u32 v8, v9, 2, 0
	s_waitcnt lgkmcnt(0)
	s_barrier
	buffer_gl0_inv
	s_and_saveexec_b32 s1, s0
	s_cbranch_execz .LBB9_19
; %bb.18:
	ds_load_b32 v10, v8
.LBB9_19:
	s_or_b32 exec_lo, exec_lo, s1
	s_waitcnt lgkmcnt(0)
	ds_bpermute_b32 v9, v2, v10
	v_max_f32_e32 v10, v10, v10
	ds_load_b32 v11, v1 offset:128
	s_waitcnt lgkmcnt(1)
	v_max_f32_e32 v9, v9, v9
	s_delay_alu instid0(VALU_DEP_1) | instskip(SKIP_3) | instid1(VALU_DEP_1)
	v_max_f32_e32 v9, v10, v9
	ds_bpermute_b32 v10, v3, v9
	s_waitcnt lgkmcnt(0)
	v_max_f32_e32 v10, v10, v10
	v_max_f32_e32 v9, v9, v10
	ds_bpermute_b32 v10, v4, v9
	s_waitcnt lgkmcnt(0)
	v_max_f32_e32 v10, v10, v10
	s_delay_alu instid0(VALU_DEP_1) | instskip(SKIP_3) | instid1(VALU_DEP_1)
	v_max_f32_e32 v9, v9, v10
	ds_bpermute_b32 v10, v6, v9
	s_waitcnt lgkmcnt(0)
	v_max_f32_e32 v10, v10, v10
	v_max_f32_e32 v9, v9, v10
	ds_bpermute_b32 v10, v7, v9
	s_waitcnt lgkmcnt(0)
	v_max_f32_e32 v10, v10, v10
	s_delay_alu instid0(VALU_DEP_1) | instskip(NEXT) | instid1(VALU_DEP_1)
	v_max_f32_e32 v9, v9, v10
	v_sub_f32_e32 v10, v11, v9
	s_delay_alu instid0(VALU_DEP_1) | instskip(SKIP_1) | instid1(VALU_DEP_2)
	v_mul_f32_e32 v11, 0x3fb8aa3b, v10
	v_cmp_ngt_f32_e64 s1, 0xc2ce8ed0, v10
	v_fma_f32 v12, 0x3fb8aa3b, v10, -v11
	v_rndne_f32_e32 v13, v11
	s_delay_alu instid0(VALU_DEP_1) | instskip(NEXT) | instid1(VALU_DEP_1)
	v_dual_fmamk_f32 v12, v10, 0x32a5705f, v12 :: v_dual_sub_f32 v11, v11, v13
	v_add_f32_e32 v11, v11, v12
	v_cvt_i32_f32_e32 v12, v13
	s_delay_alu instid0(VALU_DEP_2) | instskip(SKIP_2) | instid1(VALU_DEP_1)
	v_exp_f32_e32 v11, v11
	s_waitcnt_depctr 0xfff
	v_ldexp_f32 v11, v11, v12
	v_cndmask_b32_e64 v11, 0, v11, s1
	v_cmp_nlt_f32_e64 s1, 0x42b17218, v10
	s_delay_alu instid0(VALU_DEP_1)
	v_cndmask_b32_e64 v12, 0x7f800000, v11, s1
	ds_bpermute_b32 v10, v2, v12
	ds_store_b32 v1, v12 offset:128
	s_waitcnt lgkmcnt(1)
	v_add_f32_e32 v10, v12, v10
	ds_bpermute_b32 v11, v3, v10
	s_waitcnt lgkmcnt(0)
	v_add_f32_e32 v10, v10, v11
	ds_bpermute_b32 v11, v4, v10
	;; [unrolled: 3-line block ×4, first 2 shown]
	s_and_saveexec_b32 s1, vcc_lo
	s_cbranch_execz .LBB9_21
; %bb.20:
	s_waitcnt lgkmcnt(0)
	v_add_f32_e32 v10, v10, v11
	v_add_nc_u32_e32 v0, 0, v0
	ds_store_b32 v0, v10
.LBB9_21:
	s_or_b32 exec_lo, exec_lo, s1
	v_mov_b32_e32 v0, 0
	s_waitcnt lgkmcnt(0)
	s_barrier
	buffer_gl0_inv
	s_and_saveexec_b32 s1, s0
	s_cbranch_execz .LBB9_23
; %bb.22:
	ds_load_b32 v0, v8
.LBB9_23:
	s_or_b32 exec_lo, exec_lo, s1
	s_waitcnt lgkmcnt(0)
	ds_bpermute_b32 v2, v2, v0
	s_and_not1_b32 vcc_lo, exec_lo, s12
	s_lshl_b64 s[0:1], s[2:3], 7
	s_waitcnt lgkmcnt(0)
	v_add_f32_e32 v0, v0, v2
	ds_bpermute_b32 v2, v3, v0
	s_waitcnt lgkmcnt(0)
	v_add_f32_e32 v0, v0, v2
	ds_bpermute_b32 v2, v4, v0
	;; [unrolled: 3-line block ×4, first 2 shown]
	s_waitcnt lgkmcnt(0)
	v_add_f32_e32 v0, v0, v2
	s_cbranch_vccnz .LBB9_25
; %bb.24:
	s_lshl_b64 s[2:3], s[14:15], 2
	s_delay_alu instid0(SALU_CYCLE_1) | instskip(SKIP_4) | instid1(VALU_DEP_1)
	s_add_u32 s2, s8, s2
	s_addc_u32 s3, s9, s3
	s_load_b32 s2, s[2:3], 0x0
	s_waitcnt lgkmcnt(0)
	v_sub_f32_e32 v2, s2, v9
	v_mul_f32_e32 v3, 0x3fb8aa3b, v2
	s_delay_alu instid0(VALU_DEP_1) | instskip(SKIP_1) | instid1(VALU_DEP_1)
	v_fma_f32 v4, 0x3fb8aa3b, v2, -v3
	v_rndne_f32_e32 v6, v3
	v_sub_f32_e32 v3, v3, v6
	v_cmp_ngt_f32_e32 vcc_lo, 0xc2ce8ed0, v2
	s_delay_alu instid0(VALU_DEP_4) | instskip(NEXT) | instid1(VALU_DEP_1)
	v_fmamk_f32 v4, v2, 0x32a5705f, v4
	v_add_f32_e32 v3, v3, v4
	v_cvt_i32_f32_e32 v4, v6
	s_delay_alu instid0(VALU_DEP_2) | instskip(SKIP_2) | instid1(VALU_DEP_1)
	v_exp_f32_e32 v3, v3
	s_waitcnt_depctr 0xfff
	v_ldexp_f32 v3, v3, v4
	v_cndmask_b32_e32 v3, 0, v3, vcc_lo
	v_cmp_nlt_f32_e32 vcc_lo, 0x42b17218, v2
	s_delay_alu instid0(VALU_DEP_2) | instskip(NEXT) | instid1(VALU_DEP_1)
	v_cndmask_b32_e32 v2, 0x7f800000, v3, vcc_lo
	v_add_f32_e32 v0, v0, v2
.LBB9_25:
	s_delay_alu instid0(VALU_DEP_1) | instskip(SKIP_4) | instid1(SALU_CYCLE_1)
	v_div_scale_f32 v2, null, v0, v0, 1.0
	v_div_scale_f32 v6, vcc_lo, 1.0, v0, 1.0
	ds_load_b32 v1, v1 offset:128
	v_rcp_f32_e32 v3, v2
	s_lshl_b64 s[0:1], s[0:1], 2
	s_add_u32 s0, s10, s0
	s_addc_u32 s1, s11, s1
	s_waitcnt_depctr 0xfff
	v_fma_f32 v4, -v2, v3, 1.0
	s_delay_alu instid0(VALU_DEP_1) | instskip(NEXT) | instid1(VALU_DEP_1)
	v_fmac_f32_e32 v3, v4, v3
	v_mul_f32_e32 v4, v6, v3
	s_delay_alu instid0(VALU_DEP_1) | instskip(NEXT) | instid1(VALU_DEP_1)
	v_fma_f32 v7, -v2, v4, v6
	v_fmac_f32_e32 v4, v7, v3
	s_delay_alu instid0(VALU_DEP_1) | instskip(NEXT) | instid1(VALU_DEP_1)
	v_fma_f32 v2, -v2, v4, v6
	v_div_fmas_f32 v2, v2, v3, v4
	s_delay_alu instid0(VALU_DEP_1) | instskip(SKIP_1) | instid1(VALU_DEP_1)
	v_div_fixup_f32 v0, v2, v0, 1.0
	s_waitcnt lgkmcnt(0)
	v_mul_f32_e32 v0, v1, v0
	global_store_b32 v5, v0, s[0:1]
	s_nop 0
	s_sendmsg sendmsg(MSG_DEALLOC_VGPRS)
	s_endpgm
	.section	.rodata,"a",@progbits
	.p2align	6, 0x0
	.amdhsa_kernel _ZL12soft_max_f32ILb1ELi128ELi128E6__halfEvPKfPKT2_S2_Pf15soft_max_params
		.amdhsa_group_segment_fixed_size 0
		.amdhsa_private_segment_fixed_size 0
		.amdhsa_kernarg_size 416
		.amdhsa_user_sgpr_count 13
		.amdhsa_user_sgpr_dispatch_ptr 0
		.amdhsa_user_sgpr_queue_ptr 0
		.amdhsa_user_sgpr_kernarg_segment_ptr 1
		.amdhsa_user_sgpr_dispatch_id 0
		.amdhsa_user_sgpr_private_segment_size 0
		.amdhsa_wavefront_size32 1
		.amdhsa_uses_dynamic_stack 0
		.amdhsa_enable_private_segment 0
		.amdhsa_system_sgpr_workgroup_id_x 1
		.amdhsa_system_sgpr_workgroup_id_y 1
		.amdhsa_system_sgpr_workgroup_id_z 1
		.amdhsa_system_sgpr_workgroup_info 0
		.amdhsa_system_vgpr_workitem_id 0
		.amdhsa_next_free_vgpr 19
		.amdhsa_next_free_sgpr 28
		.amdhsa_reserve_vcc 1
		.amdhsa_float_round_mode_32 0
		.amdhsa_float_round_mode_16_64 0
		.amdhsa_float_denorm_mode_32 3
		.amdhsa_float_denorm_mode_16_64 3
		.amdhsa_dx10_clamp 1
		.amdhsa_ieee_mode 1
		.amdhsa_fp16_overflow 0
		.amdhsa_workgroup_processor_mode 1
		.amdhsa_memory_ordered 1
		.amdhsa_forward_progress 0
		.amdhsa_shared_vgpr_count 0
		.amdhsa_exception_fp_ieee_invalid_op 0
		.amdhsa_exception_fp_denorm_src 0
		.amdhsa_exception_fp_ieee_div_zero 0
		.amdhsa_exception_fp_ieee_overflow 0
		.amdhsa_exception_fp_ieee_underflow 0
		.amdhsa_exception_fp_ieee_inexact 0
		.amdhsa_exception_int_div_zero 0
	.end_amdhsa_kernel
	.section	.text._ZL12soft_max_f32ILb1ELi128ELi128E6__halfEvPKfPKT2_S2_Pf15soft_max_params,"axG",@progbits,_ZL12soft_max_f32ILb1ELi128ELi128E6__halfEvPKfPKT2_S2_Pf15soft_max_params,comdat
.Lfunc_end9:
	.size	_ZL12soft_max_f32ILb1ELi128ELi128E6__halfEvPKfPKT2_S2_Pf15soft_max_params, .Lfunc_end9-_ZL12soft_max_f32ILb1ELi128ELi128E6__halfEvPKfPKT2_S2_Pf15soft_max_params
                                        ; -- End function
	.section	.AMDGPU.csdata,"",@progbits
; Kernel info:
; codeLenInByte = 4304
; NumSgprs: 30
; NumVgprs: 19
; ScratchSize: 0
; MemoryBound: 0
; FloatMode: 240
; IeeeMode: 1
; LDSByteSize: 0 bytes/workgroup (compile time only)
; SGPRBlocks: 3
; VGPRBlocks: 2
; NumSGPRsForWavesPerEU: 30
; NumVGPRsForWavesPerEU: 19
; Occupancy: 16
; WaveLimiterHint : 1
; COMPUTE_PGM_RSRC2:SCRATCH_EN: 0
; COMPUTE_PGM_RSRC2:USER_SGPR: 13
; COMPUTE_PGM_RSRC2:TRAP_HANDLER: 0
; COMPUTE_PGM_RSRC2:TGID_X_EN: 1
; COMPUTE_PGM_RSRC2:TGID_Y_EN: 1
; COMPUTE_PGM_RSRC2:TGID_Z_EN: 1
; COMPUTE_PGM_RSRC2:TIDIG_COMP_CNT: 0
	.section	.text._ZL12soft_max_f32ILb1ELi64ELi64E6__halfEvPKfPKT2_S2_Pf15soft_max_params,"axG",@progbits,_ZL12soft_max_f32ILb1ELi64ELi64E6__halfEvPKfPKT2_S2_Pf15soft_max_params,comdat
	.globl	_ZL12soft_max_f32ILb1ELi64ELi64E6__halfEvPKfPKT2_S2_Pf15soft_max_params ; -- Begin function _ZL12soft_max_f32ILb1ELi64ELi64E6__halfEvPKfPKT2_S2_Pf15soft_max_params
	.p2align	8
	.type	_ZL12soft_max_f32ILb1ELi64ELi64E6__halfEvPKfPKT2_S2_Pf15soft_max_params,@function
_ZL12soft_max_f32ILb1ELi64ELi64E6__halfEvPKfPKT2_S2_Pf15soft_max_params: ; @_ZL12soft_max_f32ILb1ELi64ELi64E6__halfEvPKfPKT2_S2_Pf15soft_max_params
; %bb.0:
	s_clause 0x1
	s_load_b256 s[16:23], s[0:1], 0x68
	s_load_b64 s[4:5], s[0:1], 0x88
	s_mov_b32 s2, s15
	s_mov_b32 s15, 0
	s_delay_alu instid0(SALU_CYCLE_1) | instskip(SKIP_2) | instid1(SALU_CYCLE_1)
	s_mov_b32 s6, s15
	s_waitcnt lgkmcnt(0)
	s_mov_b32 s7, s23
	s_cmp_lg_u64 s[6:7], 0
	s_cbranch_scc0 .LBB10_10
; %bb.1:
	s_ashr_i32 s6, s23, 31
	s_delay_alu instid0(SALU_CYCLE_1) | instskip(SKIP_2) | instid1(SALU_CYCLE_1)
	s_add_u32 s8, s22, s6
	s_mov_b32 s7, s6
	s_addc_u32 s9, s23, s6
	s_xor_b64 s[6:7], s[8:9], s[6:7]
	s_delay_alu instid0(SALU_CYCLE_1) | instskip(SKIP_3) | instid1(VALU_DEP_1)
	v_cvt_f32_u32_e32 v1, s6
	v_cvt_f32_u32_e32 v2, s7
	s_sub_u32 s9, 0, s6
	s_subb_u32 s10, 0, s7
	v_fmamk_f32 v1, v2, 0x4f800000, v1
	s_delay_alu instid0(VALU_DEP_1) | instskip(SKIP_2) | instid1(VALU_DEP_1)
	v_rcp_f32_e32 v1, v1
	s_waitcnt_depctr 0xfff
	v_mul_f32_e32 v1, 0x5f7ffffc, v1
	v_mul_f32_e32 v2, 0x2f800000, v1
	s_delay_alu instid0(VALU_DEP_1) | instskip(NEXT) | instid1(VALU_DEP_1)
	v_trunc_f32_e32 v2, v2
	v_fmamk_f32 v1, v2, 0xcf800000, v1
	v_cvt_u32_f32_e32 v2, v2
	s_delay_alu instid0(VALU_DEP_2) | instskip(NEXT) | instid1(VALU_DEP_2)
	v_cvt_u32_f32_e32 v1, v1
	v_readfirstlane_b32 s3, v2
	s_delay_alu instid0(VALU_DEP_2) | instskip(NEXT) | instid1(VALU_DEP_2)
	v_readfirstlane_b32 s8, v1
	s_mul_i32 s11, s9, s3
	s_delay_alu instid0(VALU_DEP_1)
	s_mul_hi_u32 s23, s9, s8
	s_mul_i32 s12, s10, s8
	s_add_i32 s11, s23, s11
	s_mul_i32 s24, s9, s8
	s_add_i32 s11, s11, s12
	s_mul_hi_u32 s23, s8, s24
	s_mul_hi_u32 s25, s3, s24
	s_mul_i32 s12, s3, s24
	s_mul_hi_u32 s24, s8, s11
	s_mul_i32 s8, s8, s11
	s_mul_hi_u32 s26, s3, s11
	s_add_u32 s8, s23, s8
	s_addc_u32 s23, 0, s24
	s_add_u32 s8, s8, s12
	s_mul_i32 s11, s3, s11
	s_addc_u32 s8, s23, s25
	s_addc_u32 s12, s26, 0
	s_add_u32 s8, s8, s11
	s_addc_u32 s11, 0, s12
	v_add_co_u32 v1, s8, v1, s8
	s_delay_alu instid0(VALU_DEP_1) | instskip(SKIP_1) | instid1(VALU_DEP_1)
	s_cmp_lg_u32 s8, 0
	s_addc_u32 s3, s3, s11
	v_readfirstlane_b32 s8, v1
	s_mul_i32 s11, s9, s3
	s_delay_alu instid0(VALU_DEP_1)
	s_mul_hi_u32 s12, s9, s8
	s_mul_i32 s10, s10, s8
	s_add_i32 s11, s12, s11
	s_mul_i32 s9, s9, s8
	s_add_i32 s11, s11, s10
	s_mul_hi_u32 s12, s3, s9
	s_mul_i32 s23, s3, s9
	s_mul_hi_u32 s9, s8, s9
	s_mul_hi_u32 s24, s8, s11
	s_mul_i32 s8, s8, s11
	s_mul_hi_u32 s10, s3, s11
	s_add_u32 s8, s9, s8
	s_addc_u32 s9, 0, s24
	s_add_u32 s8, s8, s23
	s_mul_i32 s11, s3, s11
	s_addc_u32 s8, s9, s12
	s_addc_u32 s9, s10, 0
	s_add_u32 s8, s8, s11
	s_addc_u32 s9, 0, s9
	v_add_co_u32 v1, s8, v1, s8
	s_delay_alu instid0(VALU_DEP_1) | instskip(SKIP_1) | instid1(VALU_DEP_1)
	s_cmp_lg_u32 s8, 0
	s_addc_u32 s3, s3, s9
	v_readfirstlane_b32 s8, v1
	s_mul_i32 s9, s14, s3
	s_mul_hi_u32 s3, s14, s3
	s_delay_alu instid0(VALU_DEP_1) | instskip(NEXT) | instid1(SALU_CYCLE_1)
	s_mul_hi_u32 s8, s14, s8
	s_add_u32 s8, s8, s9
	s_addc_u32 s3, 0, s3
	s_add_u32 s8, s8, 0
	s_addc_u32 s3, s3, 0
	s_addc_u32 s8, 0, 0
	s_add_u32 s3, s3, 0
	s_addc_u32 s8, 0, s8
	s_mul_hi_u32 s9, s6, s3
	s_mul_i32 s8, s6, s8
	s_mul_i32 s10, s7, s3
	;; [unrolled: 1-line block ×3, first 2 shown]
	s_add_i32 s8, s9, s8
	v_sub_co_u32 v1, s3, s14, s3
	s_add_i32 s8, s8, s10
	s_delay_alu instid0(SALU_CYCLE_1) | instskip(SKIP_1) | instid1(VALU_DEP_1)
	s_sub_i32 s9, 0, s8
	s_cmp_lg_u32 s3, 0
	v_sub_co_u32 v2, s10, v1, s6
	s_subb_u32 s9, s9, s7
	s_cmp_lg_u32 s10, 0
	s_subb_u32 s11, s9, 0
	s_delay_alu instid0(VALU_DEP_1)
	v_cmp_le_u32_e32 vcc_lo, s6, v2
	s_cmp_ge_u32 s11, s7
	s_cselect_b32 s12, -1, 0
	s_cmp_eq_u32 s11, s7
	v_cndmask_b32_e64 v3, 0, -1, vcc_lo
	s_cselect_b32 vcc_lo, -1, 0
	s_cmp_lg_u32 s10, 0
	v_sub_co_u32 v4, s10, v2, s6
	s_subb_u32 s9, s9, s7
	s_cmp_lg_u32 s10, 0
	v_cndmask_b32_e32 v3, s12, v3, vcc_lo
	s_subb_u32 s9, s9, 0
	s_cmp_lg_u32 s3, 0
	v_cmp_le_u32_e32 vcc_lo, s6, v1
	s_subb_u32 s8, 0, s8
	s_delay_alu instid0(SALU_CYCLE_1)
	s_cmp_ge_u32 s8, s7
	v_cndmask_b32_e64 v5, 0, -1, vcc_lo
	s_cselect_b32 s6, -1, 0
	s_cmp_eq_u32 s8, s7
	v_cmp_ne_u32_e32 vcc_lo, 0, v3
	v_mov_b32_e32 v3, s9
	s_cselect_b32 s3, -1, 0
	s_delay_alu instid0(SALU_CYCLE_1) | instskip(SKIP_1) | instid1(VALU_DEP_3)
	v_cndmask_b32_e64 v5, s6, v5, s3
	v_cndmask_b32_e32 v2, v2, v4, vcc_lo
	v_cndmask_b32_e32 v3, s11, v3, vcc_lo
	s_mov_b32 s3, s15
	s_delay_alu instid0(VALU_DEP_3) | instskip(NEXT) | instid1(VALU_DEP_3)
	v_cmp_ne_u32_e32 vcc_lo, 0, v5
	v_cndmask_b32_e32 v1, v1, v2, vcc_lo
	s_delay_alu instid0(VALU_DEP_3) | instskip(NEXT) | instid1(VALU_DEP_2)
	v_cndmask_b32_e32 v3, s8, v3, vcc_lo
	v_sub_co_u32 v1, vcc_lo, v1, 0
	s_delay_alu instid0(VALU_DEP_2)
	v_subrev_co_ci_u32_e32 v2, vcc_lo, 0, v3, vcc_lo
	s_and_not1_b32 vcc_lo, exec_lo, s3
	s_cbranch_vccnz .LBB10_3
.LBB10_2:
	v_cvt_f32_u32_e32 v1, s22
	s_mov_b32 s7, 0
	s_sub_i32 s6, 0, s22
	s_delay_alu instid0(VALU_DEP_1) | instskip(SKIP_2) | instid1(VALU_DEP_1)
	v_rcp_iflag_f32_e32 v1, v1
	s_waitcnt_depctr 0xfff
	v_mul_f32_e32 v1, 0x4f7ffffe, v1
	v_cvt_u32_f32_e32 v1, v1
	s_delay_alu instid0(VALU_DEP_1) | instskip(NEXT) | instid1(VALU_DEP_1)
	v_readfirstlane_b32 s3, v1
	s_mul_i32 s6, s6, s3
	s_delay_alu instid0(SALU_CYCLE_1) | instskip(NEXT) | instid1(SALU_CYCLE_1)
	s_mul_hi_u32 s6, s3, s6
	s_add_i32 s3, s3, s6
	s_delay_alu instid0(SALU_CYCLE_1) | instskip(NEXT) | instid1(SALU_CYCLE_1)
	s_mul_hi_u32 s3, s14, s3
	s_mul_i32 s3, s3, s22
	s_delay_alu instid0(SALU_CYCLE_1) | instskip(NEXT) | instid1(SALU_CYCLE_1)
	s_sub_i32 s3, s14, s3
	s_sub_i32 s6, s3, s22
	s_cmp_ge_u32 s3, s22
	s_cselect_b32 s3, s6, s3
	s_delay_alu instid0(SALU_CYCLE_1) | instskip(SKIP_2) | instid1(SALU_CYCLE_1)
	s_sub_i32 s6, s3, s22
	s_cmp_ge_u32 s3, s22
	s_cselect_b32 s6, s6, s3
	v_dual_mov_b32 v1, s6 :: v_dual_mov_b32 v2, s7
.LBB10_3:
	s_load_b64 s[22:23], s[0:1], 0x90
	s_mov_b32 s6, 0
	s_mov_b32 s7, s5
	s_delay_alu instid0(SALU_CYCLE_1)
	s_cmp_lg_u64 s[6:7], 0
	s_cbranch_scc0 .LBB10_11
; %bb.4:
	s_ashr_i32 s8, s5, 31
	s_delay_alu instid0(SALU_CYCLE_1) | instskip(SKIP_2) | instid1(SALU_CYCLE_1)
	s_add_u32 s10, s4, s8
	s_mov_b32 s9, s8
	s_addc_u32 s11, s5, s8
	s_xor_b64 s[8:9], s[10:11], s[8:9]
	s_delay_alu instid0(SALU_CYCLE_1) | instskip(SKIP_3) | instid1(VALU_DEP_1)
	v_cvt_f32_u32_e32 v3, s8
	v_cvt_f32_u32_e32 v4, s9
	s_sub_u32 s7, 0, s8
	s_subb_u32 s10, 0, s9
	v_fmamk_f32 v3, v4, 0x4f800000, v3
	s_delay_alu instid0(VALU_DEP_1) | instskip(SKIP_2) | instid1(VALU_DEP_1)
	v_rcp_f32_e32 v3, v3
	s_waitcnt_depctr 0xfff
	v_mul_f32_e32 v3, 0x5f7ffffc, v3
	v_mul_f32_e32 v4, 0x2f800000, v3
	s_delay_alu instid0(VALU_DEP_1) | instskip(NEXT) | instid1(VALU_DEP_1)
	v_trunc_f32_e32 v4, v4
	v_fmamk_f32 v3, v4, 0xcf800000, v3
	v_cvt_u32_f32_e32 v4, v4
	s_delay_alu instid0(VALU_DEP_2) | instskip(NEXT) | instid1(VALU_DEP_2)
	v_cvt_u32_f32_e32 v3, v3
	v_readfirstlane_b32 s3, v4
	s_delay_alu instid0(VALU_DEP_2) | instskip(NEXT) | instid1(VALU_DEP_2)
	v_readfirstlane_b32 s5, v3
	s_mul_i32 s11, s7, s3
	s_delay_alu instid0(VALU_DEP_1)
	s_mul_hi_u32 s24, s7, s5
	s_mul_i32 s12, s10, s5
	s_add_i32 s11, s24, s11
	s_mul_i32 s25, s7, s5
	s_add_i32 s11, s11, s12
	s_mul_hi_u32 s24, s5, s25
	s_mul_hi_u32 s26, s3, s25
	s_mul_i32 s12, s3, s25
	s_mul_hi_u32 s25, s5, s11
	s_mul_i32 s5, s5, s11
	s_mul_hi_u32 s27, s3, s11
	s_add_u32 s5, s24, s5
	s_addc_u32 s24, 0, s25
	s_add_u32 s5, s5, s12
	s_mul_i32 s11, s3, s11
	s_addc_u32 s5, s24, s26
	s_addc_u32 s12, s27, 0
	s_add_u32 s5, s5, s11
	s_addc_u32 s11, 0, s12
	v_add_co_u32 v3, s5, v3, s5
	s_delay_alu instid0(VALU_DEP_1) | instskip(SKIP_1) | instid1(VALU_DEP_1)
	s_cmp_lg_u32 s5, 0
	s_addc_u32 s3, s3, s11
	v_readfirstlane_b32 s5, v3
	s_mul_i32 s11, s7, s3
	s_delay_alu instid0(VALU_DEP_1)
	s_mul_hi_u32 s12, s7, s5
	s_mul_i32 s10, s10, s5
	s_add_i32 s11, s12, s11
	s_mul_i32 s7, s7, s5
	s_add_i32 s11, s11, s10
	s_mul_hi_u32 s12, s3, s7
	s_mul_i32 s24, s3, s7
	s_mul_hi_u32 s7, s5, s7
	s_mul_hi_u32 s25, s5, s11
	s_mul_i32 s5, s5, s11
	s_mul_hi_u32 s10, s3, s11
	s_add_u32 s5, s7, s5
	s_addc_u32 s7, 0, s25
	s_add_u32 s5, s5, s24
	s_mul_i32 s11, s3, s11
	s_addc_u32 s5, s7, s12
	s_addc_u32 s7, s10, 0
	s_add_u32 s5, s5, s11
	s_addc_u32 s7, 0, s7
	v_add_co_u32 v3, s5, v3, s5
	s_delay_alu instid0(VALU_DEP_1) | instskip(SKIP_1) | instid1(VALU_DEP_1)
	s_cmp_lg_u32 s5, 0
	s_addc_u32 s3, s3, s7
	v_readfirstlane_b32 s5, v3
	s_mul_i32 s7, s2, s3
	s_mul_hi_u32 s3, s2, s3
	s_delay_alu instid0(VALU_DEP_1) | instskip(NEXT) | instid1(SALU_CYCLE_1)
	s_mul_hi_u32 s5, s2, s5
	s_add_u32 s5, s5, s7
	s_addc_u32 s3, 0, s3
	s_add_u32 s5, s5, 0
	s_addc_u32 s3, s3, 0
	s_addc_u32 s5, 0, 0
	s_add_u32 s3, s3, 0
	s_addc_u32 s5, 0, s5
	s_mul_hi_u32 s7, s8, s3
	s_mul_i32 s5, s8, s5
	s_mul_i32 s10, s9, s3
	;; [unrolled: 1-line block ×3, first 2 shown]
	s_add_i32 s5, s7, s5
	v_sub_co_u32 v3, s3, s2, s3
	s_add_i32 s5, s5, s10
	s_delay_alu instid0(SALU_CYCLE_1) | instskip(SKIP_1) | instid1(VALU_DEP_1)
	s_sub_i32 s7, 0, s5
	s_cmp_lg_u32 s3, 0
	v_sub_co_u32 v4, s10, v3, s8
	s_subb_u32 s7, s7, s9
	s_cmp_lg_u32 s10, 0
	s_subb_u32 s11, s7, 0
	s_delay_alu instid0(VALU_DEP_1)
	v_cmp_le_u32_e32 vcc_lo, s8, v4
	s_cmp_ge_u32 s11, s9
	s_cselect_b32 s12, -1, 0
	s_cmp_eq_u32 s11, s9
	v_cndmask_b32_e64 v5, 0, -1, vcc_lo
	s_cselect_b32 vcc_lo, -1, 0
	s_cmp_lg_u32 s10, 0
	v_sub_co_u32 v6, s10, v4, s8
	s_subb_u32 s7, s7, s9
	s_cmp_lg_u32 s10, 0
	v_cndmask_b32_e32 v5, s12, v5, vcc_lo
	s_subb_u32 s7, s7, 0
	s_cmp_lg_u32 s3, 0
	v_cmp_le_u32_e32 vcc_lo, s8, v3
	s_subb_u32 s5, 0, s5
	s_delay_alu instid0(SALU_CYCLE_1)
	s_cmp_ge_u32 s5, s9
	v_cndmask_b32_e64 v7, 0, -1, vcc_lo
	s_cselect_b32 s8, -1, 0
	s_cmp_eq_u32 s5, s9
	v_cmp_ne_u32_e32 vcc_lo, 0, v5
	v_mov_b32_e32 v5, s7
	s_cselect_b32 s3, -1, 0
	s_delay_alu instid0(SALU_CYCLE_1) | instskip(SKIP_1) | instid1(VALU_DEP_3)
	v_cndmask_b32_e64 v7, s8, v7, s3
	v_cndmask_b32_e32 v4, v4, v6, vcc_lo
	v_cndmask_b32_e32 v5, s11, v5, vcc_lo
	s_delay_alu instid0(VALU_DEP_3) | instskip(NEXT) | instid1(VALU_DEP_3)
	v_cmp_ne_u32_e32 vcc_lo, 0, v7
	v_cndmask_b32_e32 v3, v3, v4, vcc_lo
	s_delay_alu instid0(VALU_DEP_3) | instskip(NEXT) | instid1(VALU_DEP_2)
	v_cndmask_b32_e32 v5, s5, v5, vcc_lo
	v_sub_co_u32 v3, vcc_lo, v3, 0
	s_delay_alu instid0(VALU_DEP_2)
	v_subrev_co_ci_u32_e32 v4, vcc_lo, 0, v5, vcc_lo
	s_and_not1_b32 vcc_lo, exec_lo, s6
	s_cbranch_vccnz .LBB10_6
.LBB10_5:
	v_cvt_f32_u32_e32 v3, s4
	s_sub_i32 s5, 0, s4
	s_delay_alu instid0(VALU_DEP_1) | instskip(SKIP_2) | instid1(VALU_DEP_1)
	v_rcp_iflag_f32_e32 v3, v3
	s_waitcnt_depctr 0xfff
	v_mul_f32_e32 v3, 0x4f7ffffe, v3
	v_cvt_u32_f32_e32 v3, v3
	s_delay_alu instid0(VALU_DEP_1) | instskip(NEXT) | instid1(VALU_DEP_1)
	v_readfirstlane_b32 s3, v3
	s_mul_i32 s5, s5, s3
	s_delay_alu instid0(SALU_CYCLE_1) | instskip(NEXT) | instid1(SALU_CYCLE_1)
	s_mul_hi_u32 s5, s3, s5
	s_add_i32 s3, s3, s5
	s_delay_alu instid0(SALU_CYCLE_1) | instskip(NEXT) | instid1(SALU_CYCLE_1)
	s_mul_hi_u32 s3, s2, s3
	s_mul_i32 s3, s3, s4
	s_delay_alu instid0(SALU_CYCLE_1) | instskip(NEXT) | instid1(SALU_CYCLE_1)
	s_sub_i32 s3, s2, s3
	s_sub_i32 s5, s3, s4
	s_cmp_ge_u32 s3, s4
	s_cselect_b32 s3, s5, s3
	s_mov_b32 s5, 0
	s_sub_i32 s6, s3, s4
	s_cmp_ge_u32 s3, s4
	s_cselect_b32 s4, s6, s3
	s_delay_alu instid0(SALU_CYCLE_1)
	v_dual_mov_b32 v3, s4 :: v_dual_mov_b32 v4, s5
.LBB10_6:
	s_load_b64 s[24:25], s[0:1], 0xa0
	s_waitcnt lgkmcnt(0)
	v_cmp_le_f32_e64 s3, s23, 0
	v_mov_b32_e32 v6, 1.0
	s_delay_alu instid0(VALU_DEP_2)
	s_and_b32 vcc_lo, exec_lo, s3
	s_cbranch_vccnz .LBB10_8
; %bb.7:
	s_clause 0x1
	s_load_b32 s3, s[0:1], 0x28
	s_load_b64 s[4:5], s[0:1], 0x98
	s_add_i32 s7, s14, 1
	s_waitcnt lgkmcnt(0)
	s_sub_i32 s6, s14, s3
	v_mov_b32_e32 v5, s4
	s_lshl_b32 s6, s6, 1
	s_delay_alu instid0(SALU_CYCLE_1)
	s_or_b32 s4, s6, 1
	s_cmp_lt_u32 s14, s3
	s_cselect_b32 vcc_lo, -1, 0
	v_cndmask_b32_e32 v7, s5, v5, vcc_lo
	s_and_b32 s3, vcc_lo, exec_lo
	s_cselect_b32 s3, s7, s4
	s_mov_b32 s4, 0x3e76c4e1
	v_cvt_f32_i32_e32 v5, s3
	v_cmp_neq_f32_e32 vcc_lo, 1.0, v7
	s_delay_alu instid0(VALU_DEP_2) | instskip(NEXT) | instid1(VALU_DEP_1)
	v_cndmask_b32_e32 v8, 1.0, v5, vcc_lo
	v_cmp_eq_f32_e32 vcc_lo, 0, v8
	v_cndmask_b32_e64 v9, |v7|, 1.0, vcc_lo
	s_delay_alu instid0(VALU_DEP_1) | instskip(NEXT) | instid1(VALU_DEP_1)
	v_frexp_mant_f32_e32 v5, v9
	v_cmp_gt_f32_e64 s3, 0x3f2aaaab, v5
	s_delay_alu instid0(VALU_DEP_1) | instskip(NEXT) | instid1(VALU_DEP_1)
	v_cndmask_b32_e64 v6, 1.0, 2.0, s3
	v_mul_f32_e32 v5, v5, v6
	s_delay_alu instid0(VALU_DEP_1) | instskip(SKIP_1) | instid1(VALU_DEP_2)
	v_add_f32_e32 v6, 1.0, v5
	v_add_f32_e32 v11, -1.0, v5
	v_rcp_f32_e32 v10, v6
	s_waitcnt_depctr 0xfff
	v_mul_f32_e32 v12, v11, v10
	s_delay_alu instid0(VALU_DEP_1) | instskip(NEXT) | instid1(VALU_DEP_1)
	v_dual_add_f32 v13, -1.0, v6 :: v_dual_mul_f32 v14, v6, v12
	v_sub_f32_e32 v5, v5, v13
	v_cndmask_b32_e64 v7, v7, 1.0, vcc_lo
	s_delay_alu instid0(VALU_DEP_3) | instskip(NEXT) | instid1(VALU_DEP_2)
	v_fma_f32 v6, v12, v6, -v14
	v_cmp_eq_f32_e64 s5, 0, v7
	s_delay_alu instid0(VALU_DEP_2) | instskip(NEXT) | instid1(VALU_DEP_1)
	v_fmac_f32_e32 v6, v12, v5
	v_add_f32_e32 v5, v14, v6
	s_delay_alu instid0(VALU_DEP_1) | instskip(NEXT) | instid1(VALU_DEP_1)
	v_dual_sub_f32 v14, v5, v14 :: v_dual_sub_f32 v13, v11, v5
	v_dual_sub_f32 v6, v14, v6 :: v_dual_sub_f32 v11, v11, v13
	s_delay_alu instid0(VALU_DEP_1) | instskip(NEXT) | instid1(VALU_DEP_1)
	v_sub_f32_e32 v5, v11, v5
	v_add_f32_e32 v5, v6, v5
	s_delay_alu instid0(VALU_DEP_1) | instskip(NEXT) | instid1(VALU_DEP_1)
	v_add_f32_e32 v5, v13, v5
	v_mul_f32_e32 v5, v10, v5
	s_delay_alu instid0(VALU_DEP_1) | instskip(NEXT) | instid1(VALU_DEP_1)
	v_add_f32_e32 v10, v12, v5
	v_sub_f32_e32 v6, v10, v12
	v_mul_f32_e32 v11, v10, v10
	s_delay_alu instid0(VALU_DEP_2) | instskip(NEXT) | instid1(VALU_DEP_2)
	v_sub_f32_e32 v12, v5, v6
	v_fma_f32 v13, v10, v10, -v11
	s_delay_alu instid0(VALU_DEP_2) | instskip(NEXT) | instid1(VALU_DEP_1)
	v_add_f32_e32 v5, v12, v12
	v_fmac_f32_e32 v13, v10, v5
	v_cvt_f64_f32_e32 v[5:6], v9
	s_delay_alu instid0(VALU_DEP_2) | instskip(NEXT) | instid1(VALU_DEP_1)
	v_add_f32_e32 v14, v11, v13
	v_fmaak_f32 v15, s4, v14, 0x3e91f4c4
	v_sub_f32_e32 v11, v14, v11
	v_mul_f32_e32 v18, v10, v14
	s_delay_alu instid0(VALU_DEP_3) | instskip(NEXT) | instid1(VALU_DEP_3)
	v_fmaak_f32 v15, v14, v15, 0x3ecccdef
	v_sub_f32_e32 v11, v13, v11
	s_delay_alu instid0(VALU_DEP_2) | instskip(NEXT) | instid1(VALU_DEP_1)
	v_mul_f32_e32 v16, v14, v15
	v_fma_f32 v13, v14, v15, -v16
	s_delay_alu instid0(VALU_DEP_1) | instskip(NEXT) | instid1(VALU_DEP_1)
	v_fmac_f32_e32 v13, v11, v15
	v_add_f32_e32 v15, v16, v13
	v_frexp_exp_i32_f64_e32 v5, v[5:6]
	s_delay_alu instid0(VALU_DEP_2) | instskip(NEXT) | instid1(VALU_DEP_1)
	v_sub_f32_e32 v16, v15, v16
	v_sub_f32_e32 v6, v13, v16
	v_fma_f32 v16, v14, v10, -v18
	s_delay_alu instid0(VALU_DEP_2) | instskip(NEXT) | instid1(VALU_DEP_2)
	v_add_f32_e32 v6, 0x31739010, v6
	v_dual_add_f32 v17, 0x3f2aaaaa, v15 :: v_dual_fmac_f32 v16, v14, v12
	v_ldexp_f32 v12, v12, 1
	s_delay_alu instid0(VALU_DEP_2) | instskip(NEXT) | instid1(VALU_DEP_1)
	v_dual_add_f32 v13, 0xbf2aaaaa, v17 :: v_dual_fmac_f32 v16, v11, v10
	v_sub_f32_e32 v13, v15, v13
	s_delay_alu instid0(VALU_DEP_1) | instskip(NEXT) | instid1(VALU_DEP_3)
	v_add_f32_e32 v6, v6, v13
	v_add_f32_e32 v13, v18, v16
	s_delay_alu instid0(VALU_DEP_2) | instskip(NEXT) | instid1(VALU_DEP_1)
	v_add_f32_e32 v11, v17, v6
	v_sub_f32_e32 v14, v17, v11
	s_delay_alu instid0(VALU_DEP_3) | instskip(SKIP_2) | instid1(VALU_DEP_4)
	v_mul_f32_e32 v15, v13, v11
	v_sub_f32_e32 v17, v13, v18
	v_subrev_co_ci_u32_e64 v5, s3, 0, v5, s3
	v_add_f32_e32 v6, v6, v14
	s_delay_alu instid0(VALU_DEP_4) | instskip(NEXT) | instid1(VALU_DEP_4)
	v_fma_f32 v14, v13, v11, -v15
	v_sub_f32_e32 v16, v16, v17
	s_delay_alu instid0(VALU_DEP_4) | instskip(NEXT) | instid1(VALU_DEP_3)
	v_cvt_f32_i32_e32 v5, v5
	v_fmac_f32_e32 v14, v13, v6
	v_ldexp_f32 v6, v10, 1
	s_delay_alu instid0(VALU_DEP_2) | instskip(NEXT) | instid1(VALU_DEP_1)
	v_fmac_f32_e32 v14, v16, v11
	v_add_f32_e32 v10, v15, v14
	s_delay_alu instid0(VALU_DEP_1) | instskip(NEXT) | instid1(VALU_DEP_1)
	v_add_f32_e32 v11, v6, v10
	v_dual_sub_f32 v6, v11, v6 :: v_dual_sub_f32 v13, v10, v15
	s_delay_alu instid0(VALU_DEP_1) | instskip(NEXT) | instid1(VALU_DEP_2)
	v_sub_f32_e32 v6, v10, v6
	v_sub_f32_e32 v13, v14, v13
	s_delay_alu instid0(VALU_DEP_1) | instskip(NEXT) | instid1(VALU_DEP_1)
	v_add_f32_e32 v10, v12, v13
	v_dual_mul_f32 v15, 0x3f317218, v5 :: v_dual_add_f32 v6, v10, v6
	s_delay_alu instid0(VALU_DEP_1) | instskip(NEXT) | instid1(VALU_DEP_2)
	v_fma_f32 v14, 0x3f317218, v5, -v15
	v_add_f32_e32 v12, v11, v6
	s_delay_alu instid0(VALU_DEP_1) | instskip(NEXT) | instid1(VALU_DEP_1)
	v_sub_f32_e32 v11, v12, v11
	v_dual_fmamk_f32 v5, v5, 0xb102e308, v14 :: v_dual_sub_f32 v6, v6, v11
	s_delay_alu instid0(VALU_DEP_1) | instskip(NEXT) | instid1(VALU_DEP_1)
	v_add_f32_e32 v10, v15, v5
	v_add_f32_e32 v13, v10, v12
	s_delay_alu instid0(VALU_DEP_1) | instskip(NEXT) | instid1(VALU_DEP_1)
	v_dual_sub_f32 v15, v10, v15 :: v_dual_sub_f32 v14, v13, v10
	v_sub_f32_e32 v16, v13, v14
	s_delay_alu instid0(VALU_DEP_2) | instskip(NEXT) | instid1(VALU_DEP_2)
	v_sub_f32_e32 v5, v5, v15
	v_dual_sub_f32 v11, v12, v14 :: v_dual_sub_f32 v10, v10, v16
	s_delay_alu instid0(VALU_DEP_2) | instskip(NEXT) | instid1(VALU_DEP_2)
	v_add_f32_e32 v12, v5, v6
	v_add_f32_e32 v10, v11, v10
	s_delay_alu instid0(VALU_DEP_1) | instskip(NEXT) | instid1(VALU_DEP_1)
	v_add_f32_e32 v10, v12, v10
	v_dual_sub_f32 v11, v12, v5 :: v_dual_add_f32 v14, v13, v10
	s_delay_alu instid0(VALU_DEP_1) | instskip(SKIP_1) | instid1(VALU_DEP_3)
	v_sub_f32_e32 v12, v12, v11
	v_sub_f32_e32 v6, v6, v11
	;; [unrolled: 1-line block ×3, first 2 shown]
	s_delay_alu instid0(VALU_DEP_3) | instskip(NEXT) | instid1(VALU_DEP_1)
	v_sub_f32_e32 v5, v5, v12
	v_add_f32_e32 v5, v6, v5
	s_delay_alu instid0(VALU_DEP_3) | instskip(NEXT) | instid1(VALU_DEP_1)
	v_sub_f32_e32 v6, v10, v11
	v_add_f32_e32 v5, v5, v6
	s_delay_alu instid0(VALU_DEP_1) | instskip(NEXT) | instid1(VALU_DEP_1)
	v_add_f32_e32 v6, v14, v5
	v_mul_f32_e32 v11, v8, v6
	v_sub_f32_e32 v10, v6, v14
	s_delay_alu instid0(VALU_DEP_2) | instskip(NEXT) | instid1(VALU_DEP_2)
	v_fma_f32 v6, v8, v6, -v11
	v_sub_f32_e32 v5, v5, v10
	v_cmp_class_f32_e64 s3, v11, 0x204
	s_delay_alu instid0(VALU_DEP_2) | instskip(NEXT) | instid1(VALU_DEP_1)
	v_fmac_f32_e32 v6, v8, v5
	v_add_f32_e32 v5, v11, v6
	s_delay_alu instid0(VALU_DEP_1) | instskip(NEXT) | instid1(VALU_DEP_1)
	v_cndmask_b32_e64 v10, v5, v11, s3
	v_cmp_eq_f32_e64 s3, 0x42b17218, v10
	s_delay_alu instid0(VALU_DEP_1) | instskip(SKIP_1) | instid1(VALU_DEP_2)
	v_cndmask_b32_e64 v12, 0, 0x37000000, s3
	v_cmp_neq_f32_e64 s3, 0x7f800000, |v10|
	v_sub_f32_e32 v13, v10, v12
	v_trunc_f32_e32 v10, v8
	s_delay_alu instid0(VALU_DEP_2) | instskip(NEXT) | instid1(VALU_DEP_1)
	v_mul_f32_e32 v14, 0x3fb8aa3b, v13
	v_fma_f32 v15, 0x3fb8aa3b, v13, -v14
	v_rndne_f32_e32 v16, v14
	s_delay_alu instid0(VALU_DEP_1) | instskip(NEXT) | instid1(VALU_DEP_1)
	v_dual_fmamk_f32 v15, v13, 0x32a5705f, v15 :: v_dual_sub_f32 v14, v14, v16
	v_add_f32_e32 v14, v14, v15
	v_sub_f32_e32 v5, v5, v11
	v_cvt_i32_f32_e32 v11, v16
	s_delay_alu instid0(VALU_DEP_3) | instskip(NEXT) | instid1(VALU_DEP_2)
	v_exp_f32_e32 v14, v14
	v_sub_f32_e32 v5, v6, v5
	s_delay_alu instid0(VALU_DEP_1)
	v_cndmask_b32_e64 v5, 0, v5, s3
	v_cmp_ngt_f32_e64 s3, 0xc2ce8ed0, v13
	s_waitcnt_depctr 0xfff
	v_ldexp_f32 v6, v14, v11
	v_mul_f32_e32 v11, 0.5, v8
	v_add_f32_e32 v5, v12, v5
	s_delay_alu instid0(VALU_DEP_3) | instskip(NEXT) | instid1(VALU_DEP_3)
	v_cndmask_b32_e64 v6, 0, v6, s3
	v_trunc_f32_e32 v14, v11
	v_cmp_nlt_f32_e64 s3, 0x42b17218, v13
	s_delay_alu instid0(VALU_DEP_2) | instskip(NEXT) | instid1(VALU_DEP_2)
	v_cmp_neq_f32_e64 s4, v14, v11
	v_cndmask_b32_e64 v6, 0x7f800000, v6, s3
	v_cmp_eq_f32_e64 s3, v10, v8
	s_delay_alu instid0(VALU_DEP_2) | instskip(NEXT) | instid1(VALU_DEP_2)
	v_fma_f32 v5, v6, v5, v6
	s_and_b32 vcc_lo, s3, s4
	v_cmp_class_f32_e64 s4, v6, 0x204
	v_cndmask_b32_e32 v10, 1.0, v7, vcc_lo
	s_delay_alu instid0(VALU_DEP_2) | instskip(SKIP_1) | instid1(VALU_DEP_2)
	v_cndmask_b32_e64 v5, v5, v6, s4
	v_cmp_gt_f32_e64 s4, 0, v8
	v_bfi_b32 v5, 0x7fffffff, v5, v10
	s_delay_alu instid0(VALU_DEP_2)
	s_xor_b32 s4, s4, s5
	v_cndmask_b32_e32 v10, 0, v7, vcc_lo
	v_cndmask_b32_e64 v6, 0x7f800000, 0, s4
	v_cmp_eq_f32_e32 vcc_lo, 0x7f800000, v9
	v_cndmask_b32_e64 v8, 0x7fc00000, v5, s3
	v_cmp_gt_f32_e64 s3, 0, v7
	s_delay_alu instid0(VALU_DEP_4) | instskip(SKIP_1) | instid1(VALU_DEP_2)
	v_bfi_b32 v6, 0x7fffffff, v6, v10
	s_or_b32 vcc_lo, vcc_lo, s5
	v_cndmask_b32_e64 v5, v5, v8, s3
	s_delay_alu instid0(VALU_DEP_1) | instskip(SKIP_1) | instid1(VALU_DEP_2)
	v_cndmask_b32_e32 v5, v5, v6, vcc_lo
	v_cmp_o_f32_e32 vcc_lo, v7, v7
	v_cndmask_b32_e32 v6, 0x7fc00000, v5, vcc_lo
.LBB10_8:
	s_load_b256 s[4:11], s[0:1], 0x0
	s_waitcnt lgkmcnt(0)
	s_cmp_lg_u64 s[8:9], 0
	s_cselect_b32 s12, -1, 0
	s_cmp_eq_u64 s[8:9], 0
	s_cbranch_scc1 .LBB10_12
; %bb.9:
	s_lshl_b64 s[0:1], s[14:15], 2
	s_delay_alu instid0(SALU_CYCLE_1)
	s_add_u32 s0, s8, s0
	s_addc_u32 s1, s9, s1
	s_load_b32 s0, s[0:1], 0x0
	s_branch .LBB10_13
.LBB10_10:
                                        ; implicit-def: $vgpr1_vgpr2
	s_branch .LBB10_2
.LBB10_11:
                                        ; implicit-def: $vgpr3_vgpr4
	s_branch .LBB10_5
.LBB10_12:
	s_mov_b32 s0, 0xff800000
.LBB10_13:
	s_mul_i32 s1, s25, s2
	v_dual_mov_b32 v8, 0 :: v_dual_lshlrev_b32 v5, 2, v0
	s_add_i32 s1, s1, s14
	s_delay_alu instid0(SALU_CYCLE_1) | instskip(NEXT) | instid1(SALU_CYCLE_1)
	s_mul_i32 s1, s1, s24
	s_add_i32 s2, s1, s13
	s_delay_alu instid0(SALU_CYCLE_1) | instskip(NEXT) | instid1(SALU_CYCLE_1)
	s_ashr_i32 s3, s2, 31
	s_lshl_b64 s[24:25], s[2:3], 8
	s_delay_alu instid0(SALU_CYCLE_1)
	s_add_u32 s4, s4, s24
	s_addc_u32 s5, s5, s25
	s_cmp_eq_u64 s[6:7], 0
	global_load_b32 v7, v5, s[4:5]
	s_cselect_b32 s1, -1, 0
	s_cmp_lg_u64 s[6:7], 0
	s_cbranch_scc0 .LBB10_15
; %bb.14:
	v_mul_lo_u32 v8, v1, s19
	v_mul_hi_u32 v9, v1, s18
	v_mul_lo_u32 v10, v3, s21
	v_mul_hi_u32 v11, v3, s20
	v_mul_lo_u32 v2, v2, s18
	v_mul_lo_u32 v1, v1, s18
	;; [unrolled: 1-line block ×4, first 2 shown]
	s_mul_i32 s4, s17, s13
	v_add_nc_u32_e32 v8, v9, v8
	s_mul_hi_u32 s5, s16, s13
	v_add_nc_u32_e32 v9, v11, v10
	s_mul_i32 s13, s16, s13
	s_add_i32 s5, s5, s4
	v_add_nc_u32_e32 v2, v8, v2
	v_add_co_u32 v1, vcc_lo, v1, s13
	v_add_nc_u32_e32 v4, v9, v4
	s_delay_alu instid0(VALU_DEP_3) | instskip(NEXT) | instid1(VALU_DEP_3)
	v_add_co_ci_u32_e32 v2, vcc_lo, s5, v2, vcc_lo
	v_add_co_u32 v1, vcc_lo, v1, v3
	v_lshlrev_b32_e32 v3, 1, v0
	s_delay_alu instid0(VALU_DEP_3) | instskip(NEXT) | instid1(VALU_DEP_1)
	v_add_co_ci_u32_e32 v2, vcc_lo, v2, v4, vcc_lo
	v_lshrrev_b64 v[1:2], 1, v[1:2]
	s_delay_alu instid0(VALU_DEP_1) | instskip(NEXT) | instid1(VALU_DEP_2)
	v_cndmask_b32_e64 v2, v2, 0, s1
	v_cndmask_b32_e64 v1, v1, 0, s1
	s_delay_alu instid0(VALU_DEP_1) | instskip(NEXT) | instid1(VALU_DEP_1)
	v_lshlrev_b64 v[1:2], 1, v[1:2]
	v_add_co_u32 v1, vcc_lo, s6, v1
	s_delay_alu instid0(VALU_DEP_2) | instskip(NEXT) | instid1(VALU_DEP_2)
	v_add_co_ci_u32_e32 v2, vcc_lo, s7, v2, vcc_lo
	v_readfirstlane_b32 s4, v1
	s_delay_alu instid0(VALU_DEP_2) | instskip(SKIP_3) | instid1(VALU_DEP_1)
	v_readfirstlane_b32 s5, v2
	global_load_u16 v1, v3, s[4:5]
	s_waitcnt vmcnt(0)
	v_cvt_f32_f16_e32 v1, v1
	v_mul_f32_e32 v8, v6, v1
.LBB10_15:
	v_mbcnt_lo_u32_b32 v1, -1, 0
	s_waitcnt lgkmcnt(0)
	v_max_f32_e64 v3, s0, s0
	s_delay_alu instid0(VALU_DEP_2) | instskip(SKIP_1) | instid1(VALU_DEP_2)
	v_xor_b32_e32 v2, 16, v1
	v_xor_b32_e32 v6, 8, v1
	v_cmp_gt_i32_e32 vcc_lo, 32, v2
	v_cndmask_b32_e32 v2, v1, v2, vcc_lo
	s_delay_alu instid0(VALU_DEP_3) | instskip(NEXT) | instid1(VALU_DEP_2)
	v_cmp_gt_i32_e32 vcc_lo, 32, v6
	v_lshlrev_b32_e32 v2, 2, v2
	v_cndmask_b32_e32 v6, v1, v6, vcc_lo
	s_waitcnt vmcnt(0)
	v_fmac_f32_e32 v8, s22, v7
	s_delay_alu instid0(VALU_DEP_1) | instskip(SKIP_3) | instid1(VALU_DEP_1)
	v_max_f32_e32 v4, v3, v8
	ds_bpermute_b32 v3, v2, v4
	s_waitcnt lgkmcnt(0)
	v_max_f32_e32 v7, v3, v3
	v_dual_max_f32 v6, v4, v7 :: v_dual_lshlrev_b32 v3, 2, v6
	v_xor_b32_e32 v7, 4, v1
	ds_bpermute_b32 v4, v3, v6
	v_cmp_gt_i32_e32 vcc_lo, 32, v7
	v_cndmask_b32_e32 v7, v1, v7, vcc_lo
	s_waitcnt lgkmcnt(0)
	s_delay_alu instid0(VALU_DEP_1) | instskip(NEXT) | instid1(VALU_DEP_1)
	v_dual_max_f32 v9, v4, v4 :: v_dual_lshlrev_b32 v4, 2, v7
	v_max_f32_e32 v7, v6, v9
	v_xor_b32_e32 v9, 2, v1
	ds_bpermute_b32 v6, v4, v7
	v_cmp_gt_i32_e32 vcc_lo, 32, v9
	s_waitcnt lgkmcnt(0)
	v_dual_cndmask_b32 v9, v1, v9 :: v_dual_max_f32 v10, v6, v6
	s_delay_alu instid0(VALU_DEP_1)
	v_dual_max_f32 v7, v7, v10 :: v_dual_lshlrev_b32 v6, 2, v9
	v_xor_b32_e32 v10, 1, v1
	ds_bpermute_b32 v9, v6, v7
	v_cmp_gt_i32_e32 vcc_lo, 32, v10
	s_waitcnt lgkmcnt(0)
	v_max_f32_e32 v9, v9, v9
	s_delay_alu instid0(VALU_DEP_1) | instskip(NEXT) | instid1(VALU_DEP_1)
	v_dual_cndmask_b32 v1, v1, v10 :: v_dual_max_f32 v10, v7, v9
	v_lshlrev_b32_e32 v7, 2, v1
	v_and_b32_e32 v9, 31, v0
	v_lshl_add_u32 v1, v0, 2, 0
	v_lshrrev_b32_e32 v0, 3, v0
	ds_bpermute_b32 v11, v7, v10
	v_cmp_eq_u32_e32 vcc_lo, 0, v9
	ds_store_b32 v1, v8 offset:128
	s_and_saveexec_b32 s0, vcc_lo
	s_delay_alu instid0(SALU_CYCLE_1)
	s_xor_b32 s0, exec_lo, s0
	s_cbranch_execz .LBB10_17
; %bb.16:
	s_waitcnt lgkmcnt(1)
	v_max_f32_e32 v8, v11, v11
	v_max_f32_e32 v10, v10, v10
	s_delay_alu instid0(VALU_DEP_1)
	v_max_f32_e32 v8, v10, v8
	v_add_nc_u32_e32 v10, 0, v0
	ds_store_b32 v10, v8
.LBB10_17:
	s_or_b32 exec_lo, exec_lo, s0
	v_cmp_gt_u32_e64 s0, 2, v9
	v_mov_b32_e32 v10, 0xff800000
	v_lshl_add_u32 v8, v9, 2, 0
	s_waitcnt lgkmcnt(0)
	s_barrier
	buffer_gl0_inv
	s_and_saveexec_b32 s1, s0
	s_cbranch_execz .LBB10_19
; %bb.18:
	ds_load_b32 v10, v8
.LBB10_19:
	s_or_b32 exec_lo, exec_lo, s1
	s_waitcnt lgkmcnt(0)
	ds_bpermute_b32 v9, v2, v10
	v_max_f32_e32 v10, v10, v10
	ds_load_b32 v11, v1 offset:128
	s_waitcnt lgkmcnt(1)
	v_max_f32_e32 v9, v9, v9
	s_delay_alu instid0(VALU_DEP_1) | instskip(SKIP_3) | instid1(VALU_DEP_1)
	v_max_f32_e32 v9, v10, v9
	ds_bpermute_b32 v10, v3, v9
	s_waitcnt lgkmcnt(0)
	v_max_f32_e32 v10, v10, v10
	v_max_f32_e32 v9, v9, v10
	ds_bpermute_b32 v10, v4, v9
	s_waitcnt lgkmcnt(0)
	v_max_f32_e32 v10, v10, v10
	s_delay_alu instid0(VALU_DEP_1) | instskip(SKIP_3) | instid1(VALU_DEP_1)
	v_max_f32_e32 v9, v9, v10
	ds_bpermute_b32 v10, v6, v9
	s_waitcnt lgkmcnt(0)
	v_max_f32_e32 v10, v10, v10
	v_max_f32_e32 v9, v9, v10
	ds_bpermute_b32 v10, v7, v9
	s_waitcnt lgkmcnt(0)
	v_max_f32_e32 v10, v10, v10
	s_delay_alu instid0(VALU_DEP_1) | instskip(NEXT) | instid1(VALU_DEP_1)
	v_max_f32_e32 v9, v9, v10
	v_sub_f32_e32 v10, v11, v9
	s_delay_alu instid0(VALU_DEP_1) | instskip(SKIP_1) | instid1(VALU_DEP_2)
	v_mul_f32_e32 v11, 0x3fb8aa3b, v10
	v_cmp_ngt_f32_e64 s1, 0xc2ce8ed0, v10
	v_fma_f32 v12, 0x3fb8aa3b, v10, -v11
	v_rndne_f32_e32 v13, v11
	s_delay_alu instid0(VALU_DEP_1) | instskip(NEXT) | instid1(VALU_DEP_1)
	v_dual_fmamk_f32 v12, v10, 0x32a5705f, v12 :: v_dual_sub_f32 v11, v11, v13
	v_add_f32_e32 v11, v11, v12
	v_cvt_i32_f32_e32 v12, v13
	s_delay_alu instid0(VALU_DEP_2) | instskip(SKIP_2) | instid1(VALU_DEP_1)
	v_exp_f32_e32 v11, v11
	s_waitcnt_depctr 0xfff
	v_ldexp_f32 v11, v11, v12
	v_cndmask_b32_e64 v11, 0, v11, s1
	v_cmp_nlt_f32_e64 s1, 0x42b17218, v10
	s_delay_alu instid0(VALU_DEP_1)
	v_cndmask_b32_e64 v12, 0x7f800000, v11, s1
	ds_bpermute_b32 v10, v2, v12
	ds_store_b32 v1, v12 offset:128
	s_waitcnt lgkmcnt(1)
	v_add_f32_e32 v10, v12, v10
	ds_bpermute_b32 v11, v3, v10
	s_waitcnt lgkmcnt(0)
	v_add_f32_e32 v10, v10, v11
	ds_bpermute_b32 v11, v4, v10
	;; [unrolled: 3-line block ×4, first 2 shown]
	s_and_saveexec_b32 s1, vcc_lo
	s_cbranch_execz .LBB10_21
; %bb.20:
	s_waitcnt lgkmcnt(0)
	v_add_f32_e32 v10, v10, v11
	v_add_nc_u32_e32 v0, 0, v0
	ds_store_b32 v0, v10
.LBB10_21:
	s_or_b32 exec_lo, exec_lo, s1
	v_mov_b32_e32 v0, 0
	s_waitcnt lgkmcnt(0)
	s_barrier
	buffer_gl0_inv
	s_and_saveexec_b32 s1, s0
	s_cbranch_execz .LBB10_23
; %bb.22:
	ds_load_b32 v0, v8
.LBB10_23:
	s_or_b32 exec_lo, exec_lo, s1
	s_waitcnt lgkmcnt(0)
	ds_bpermute_b32 v2, v2, v0
	s_and_not1_b32 vcc_lo, exec_lo, s12
	s_lshl_b64 s[0:1], s[2:3], 6
	s_waitcnt lgkmcnt(0)
	v_add_f32_e32 v0, v0, v2
	ds_bpermute_b32 v2, v3, v0
	s_waitcnt lgkmcnt(0)
	v_add_f32_e32 v0, v0, v2
	ds_bpermute_b32 v2, v4, v0
	;; [unrolled: 3-line block ×4, first 2 shown]
	s_waitcnt lgkmcnt(0)
	v_add_f32_e32 v0, v0, v2
	s_cbranch_vccnz .LBB10_25
; %bb.24:
	s_lshl_b64 s[2:3], s[14:15], 2
	s_delay_alu instid0(SALU_CYCLE_1) | instskip(SKIP_4) | instid1(VALU_DEP_1)
	s_add_u32 s2, s8, s2
	s_addc_u32 s3, s9, s3
	s_load_b32 s2, s[2:3], 0x0
	s_waitcnt lgkmcnt(0)
	v_sub_f32_e32 v2, s2, v9
	v_mul_f32_e32 v3, 0x3fb8aa3b, v2
	s_delay_alu instid0(VALU_DEP_1) | instskip(SKIP_1) | instid1(VALU_DEP_1)
	v_fma_f32 v4, 0x3fb8aa3b, v2, -v3
	v_rndne_f32_e32 v6, v3
	v_sub_f32_e32 v3, v3, v6
	v_cmp_ngt_f32_e32 vcc_lo, 0xc2ce8ed0, v2
	s_delay_alu instid0(VALU_DEP_4) | instskip(NEXT) | instid1(VALU_DEP_1)
	v_fmamk_f32 v4, v2, 0x32a5705f, v4
	v_add_f32_e32 v3, v3, v4
	v_cvt_i32_f32_e32 v4, v6
	s_delay_alu instid0(VALU_DEP_2) | instskip(SKIP_2) | instid1(VALU_DEP_1)
	v_exp_f32_e32 v3, v3
	s_waitcnt_depctr 0xfff
	v_ldexp_f32 v3, v3, v4
	v_cndmask_b32_e32 v3, 0, v3, vcc_lo
	v_cmp_nlt_f32_e32 vcc_lo, 0x42b17218, v2
	s_delay_alu instid0(VALU_DEP_2) | instskip(NEXT) | instid1(VALU_DEP_1)
	v_cndmask_b32_e32 v2, 0x7f800000, v3, vcc_lo
	v_add_f32_e32 v0, v0, v2
.LBB10_25:
	s_delay_alu instid0(VALU_DEP_1) | instskip(SKIP_4) | instid1(SALU_CYCLE_1)
	v_div_scale_f32 v2, null, v0, v0, 1.0
	v_div_scale_f32 v6, vcc_lo, 1.0, v0, 1.0
	ds_load_b32 v1, v1 offset:128
	v_rcp_f32_e32 v3, v2
	s_lshl_b64 s[0:1], s[0:1], 2
	s_add_u32 s0, s10, s0
	s_addc_u32 s1, s11, s1
	s_waitcnt_depctr 0xfff
	v_fma_f32 v4, -v2, v3, 1.0
	s_delay_alu instid0(VALU_DEP_1) | instskip(NEXT) | instid1(VALU_DEP_1)
	v_fmac_f32_e32 v3, v4, v3
	v_mul_f32_e32 v4, v6, v3
	s_delay_alu instid0(VALU_DEP_1) | instskip(NEXT) | instid1(VALU_DEP_1)
	v_fma_f32 v7, -v2, v4, v6
	v_fmac_f32_e32 v4, v7, v3
	s_delay_alu instid0(VALU_DEP_1) | instskip(NEXT) | instid1(VALU_DEP_1)
	v_fma_f32 v2, -v2, v4, v6
	v_div_fmas_f32 v2, v2, v3, v4
	s_delay_alu instid0(VALU_DEP_1) | instskip(SKIP_1) | instid1(VALU_DEP_1)
	v_div_fixup_f32 v0, v2, v0, 1.0
	s_waitcnt lgkmcnt(0)
	v_mul_f32_e32 v0, v1, v0
	global_store_b32 v5, v0, s[0:1]
	s_nop 0
	s_sendmsg sendmsg(MSG_DEALLOC_VGPRS)
	s_endpgm
	.section	.rodata,"a",@progbits
	.p2align	6, 0x0
	.amdhsa_kernel _ZL12soft_max_f32ILb1ELi64ELi64E6__halfEvPKfPKT2_S2_Pf15soft_max_params
		.amdhsa_group_segment_fixed_size 0
		.amdhsa_private_segment_fixed_size 0
		.amdhsa_kernarg_size 416
		.amdhsa_user_sgpr_count 13
		.amdhsa_user_sgpr_dispatch_ptr 0
		.amdhsa_user_sgpr_queue_ptr 0
		.amdhsa_user_sgpr_kernarg_segment_ptr 1
		.amdhsa_user_sgpr_dispatch_id 0
		.amdhsa_user_sgpr_private_segment_size 0
		.amdhsa_wavefront_size32 1
		.amdhsa_uses_dynamic_stack 0
		.amdhsa_enable_private_segment 0
		.amdhsa_system_sgpr_workgroup_id_x 1
		.amdhsa_system_sgpr_workgroup_id_y 1
		.amdhsa_system_sgpr_workgroup_id_z 1
		.amdhsa_system_sgpr_workgroup_info 0
		.amdhsa_system_vgpr_workitem_id 0
		.amdhsa_next_free_vgpr 19
		.amdhsa_next_free_sgpr 28
		.amdhsa_reserve_vcc 1
		.amdhsa_float_round_mode_32 0
		.amdhsa_float_round_mode_16_64 0
		.amdhsa_float_denorm_mode_32 3
		.amdhsa_float_denorm_mode_16_64 3
		.amdhsa_dx10_clamp 1
		.amdhsa_ieee_mode 1
		.amdhsa_fp16_overflow 0
		.amdhsa_workgroup_processor_mode 1
		.amdhsa_memory_ordered 1
		.amdhsa_forward_progress 0
		.amdhsa_shared_vgpr_count 0
		.amdhsa_exception_fp_ieee_invalid_op 0
		.amdhsa_exception_fp_denorm_src 0
		.amdhsa_exception_fp_ieee_div_zero 0
		.amdhsa_exception_fp_ieee_overflow 0
		.amdhsa_exception_fp_ieee_underflow 0
		.amdhsa_exception_fp_ieee_inexact 0
		.amdhsa_exception_int_div_zero 0
	.end_amdhsa_kernel
	.section	.text._ZL12soft_max_f32ILb1ELi64ELi64E6__halfEvPKfPKT2_S2_Pf15soft_max_params,"axG",@progbits,_ZL12soft_max_f32ILb1ELi64ELi64E6__halfEvPKfPKT2_S2_Pf15soft_max_params,comdat
.Lfunc_end10:
	.size	_ZL12soft_max_f32ILb1ELi64ELi64E6__halfEvPKfPKT2_S2_Pf15soft_max_params, .Lfunc_end10-_ZL12soft_max_f32ILb1ELi64ELi64E6__halfEvPKfPKT2_S2_Pf15soft_max_params
                                        ; -- End function
	.section	.AMDGPU.csdata,"",@progbits
; Kernel info:
; codeLenInByte = 4304
; NumSgprs: 30
; NumVgprs: 19
; ScratchSize: 0
; MemoryBound: 0
; FloatMode: 240
; IeeeMode: 1
; LDSByteSize: 0 bytes/workgroup (compile time only)
; SGPRBlocks: 3
; VGPRBlocks: 2
; NumSGPRsForWavesPerEU: 30
; NumVGPRsForWavesPerEU: 19
; Occupancy: 16
; WaveLimiterHint : 1
; COMPUTE_PGM_RSRC2:SCRATCH_EN: 0
; COMPUTE_PGM_RSRC2:USER_SGPR: 13
; COMPUTE_PGM_RSRC2:TRAP_HANDLER: 0
; COMPUTE_PGM_RSRC2:TGID_X_EN: 1
; COMPUTE_PGM_RSRC2:TGID_Y_EN: 1
; COMPUTE_PGM_RSRC2:TGID_Z_EN: 1
; COMPUTE_PGM_RSRC2:TIDIG_COMP_CNT: 0
	.section	.text._ZL12soft_max_f32ILb1ELi32ELi32E6__halfEvPKfPKT2_S2_Pf15soft_max_params,"axG",@progbits,_ZL12soft_max_f32ILb1ELi32ELi32E6__halfEvPKfPKT2_S2_Pf15soft_max_params,comdat
	.globl	_ZL12soft_max_f32ILb1ELi32ELi32E6__halfEvPKfPKT2_S2_Pf15soft_max_params ; -- Begin function _ZL12soft_max_f32ILb1ELi32ELi32E6__halfEvPKfPKT2_S2_Pf15soft_max_params
	.p2align	8
	.type	_ZL12soft_max_f32ILb1ELi32ELi32E6__halfEvPKfPKT2_S2_Pf15soft_max_params,@function
_ZL12soft_max_f32ILb1ELi32ELi32E6__halfEvPKfPKT2_S2_Pf15soft_max_params: ; @_ZL12soft_max_f32ILb1ELi32ELi32E6__halfEvPKfPKT2_S2_Pf15soft_max_params
; %bb.0:
	s_clause 0x1
	s_load_b256 s[16:23], s[0:1], 0x68
	s_load_b64 s[4:5], s[0:1], 0x88
	s_mov_b32 s2, s15
	s_mov_b32 s15, 0
	s_delay_alu instid0(SALU_CYCLE_1) | instskip(SKIP_2) | instid1(SALU_CYCLE_1)
	s_mov_b32 s6, s15
	s_waitcnt lgkmcnt(0)
	s_mov_b32 s7, s23
	s_cmp_lg_u64 s[6:7], 0
	s_cbranch_scc0 .LBB11_10
; %bb.1:
	s_ashr_i32 s6, s23, 31
	s_delay_alu instid0(SALU_CYCLE_1) | instskip(SKIP_2) | instid1(SALU_CYCLE_1)
	s_add_u32 s8, s22, s6
	s_mov_b32 s7, s6
	s_addc_u32 s9, s23, s6
	s_xor_b64 s[6:7], s[8:9], s[6:7]
	s_delay_alu instid0(SALU_CYCLE_1) | instskip(SKIP_3) | instid1(VALU_DEP_1)
	v_cvt_f32_u32_e32 v1, s6
	v_cvt_f32_u32_e32 v2, s7
	s_sub_u32 s9, 0, s6
	s_subb_u32 s10, 0, s7
	v_fmamk_f32 v1, v2, 0x4f800000, v1
	s_delay_alu instid0(VALU_DEP_1) | instskip(SKIP_2) | instid1(VALU_DEP_1)
	v_rcp_f32_e32 v1, v1
	s_waitcnt_depctr 0xfff
	v_mul_f32_e32 v1, 0x5f7ffffc, v1
	v_mul_f32_e32 v2, 0x2f800000, v1
	s_delay_alu instid0(VALU_DEP_1) | instskip(NEXT) | instid1(VALU_DEP_1)
	v_trunc_f32_e32 v2, v2
	v_fmamk_f32 v1, v2, 0xcf800000, v1
	v_cvt_u32_f32_e32 v2, v2
	s_delay_alu instid0(VALU_DEP_2) | instskip(NEXT) | instid1(VALU_DEP_2)
	v_cvt_u32_f32_e32 v1, v1
	v_readfirstlane_b32 s3, v2
	s_delay_alu instid0(VALU_DEP_2) | instskip(NEXT) | instid1(VALU_DEP_2)
	v_readfirstlane_b32 s8, v1
	s_mul_i32 s11, s9, s3
	s_delay_alu instid0(VALU_DEP_1)
	s_mul_hi_u32 s23, s9, s8
	s_mul_i32 s12, s10, s8
	s_add_i32 s11, s23, s11
	s_mul_i32 s24, s9, s8
	s_add_i32 s11, s11, s12
	s_mul_hi_u32 s23, s8, s24
	s_mul_hi_u32 s25, s3, s24
	s_mul_i32 s12, s3, s24
	s_mul_hi_u32 s24, s8, s11
	s_mul_i32 s8, s8, s11
	s_mul_hi_u32 s26, s3, s11
	s_add_u32 s8, s23, s8
	s_addc_u32 s23, 0, s24
	s_add_u32 s8, s8, s12
	s_mul_i32 s11, s3, s11
	s_addc_u32 s8, s23, s25
	s_addc_u32 s12, s26, 0
	s_add_u32 s8, s8, s11
	s_addc_u32 s11, 0, s12
	v_add_co_u32 v1, s8, v1, s8
	s_delay_alu instid0(VALU_DEP_1) | instskip(SKIP_1) | instid1(VALU_DEP_1)
	s_cmp_lg_u32 s8, 0
	s_addc_u32 s3, s3, s11
	v_readfirstlane_b32 s8, v1
	s_mul_i32 s11, s9, s3
	s_delay_alu instid0(VALU_DEP_1)
	s_mul_hi_u32 s12, s9, s8
	s_mul_i32 s10, s10, s8
	s_add_i32 s11, s12, s11
	s_mul_i32 s9, s9, s8
	s_add_i32 s11, s11, s10
	s_mul_hi_u32 s12, s3, s9
	s_mul_i32 s23, s3, s9
	s_mul_hi_u32 s9, s8, s9
	s_mul_hi_u32 s24, s8, s11
	s_mul_i32 s8, s8, s11
	s_mul_hi_u32 s10, s3, s11
	s_add_u32 s8, s9, s8
	s_addc_u32 s9, 0, s24
	s_add_u32 s8, s8, s23
	s_mul_i32 s11, s3, s11
	s_addc_u32 s8, s9, s12
	s_addc_u32 s9, s10, 0
	s_add_u32 s8, s8, s11
	s_addc_u32 s9, 0, s9
	v_add_co_u32 v1, s8, v1, s8
	s_delay_alu instid0(VALU_DEP_1) | instskip(SKIP_1) | instid1(VALU_DEP_1)
	s_cmp_lg_u32 s8, 0
	s_addc_u32 s3, s3, s9
	v_readfirstlane_b32 s8, v1
	s_mul_i32 s9, s14, s3
	s_mul_hi_u32 s3, s14, s3
	s_delay_alu instid0(VALU_DEP_1) | instskip(NEXT) | instid1(SALU_CYCLE_1)
	s_mul_hi_u32 s8, s14, s8
	s_add_u32 s8, s8, s9
	s_addc_u32 s3, 0, s3
	s_add_u32 s8, s8, 0
	s_addc_u32 s3, s3, 0
	s_addc_u32 s8, 0, 0
	s_add_u32 s3, s3, 0
	s_addc_u32 s8, 0, s8
	s_mul_hi_u32 s9, s6, s3
	s_mul_i32 s8, s6, s8
	s_mul_i32 s10, s7, s3
	;; [unrolled: 1-line block ×3, first 2 shown]
	s_add_i32 s8, s9, s8
	v_sub_co_u32 v1, s3, s14, s3
	s_add_i32 s8, s8, s10
	s_delay_alu instid0(SALU_CYCLE_1) | instskip(SKIP_1) | instid1(VALU_DEP_1)
	s_sub_i32 s9, 0, s8
	s_cmp_lg_u32 s3, 0
	v_sub_co_u32 v2, s10, v1, s6
	s_subb_u32 s9, s9, s7
	s_cmp_lg_u32 s10, 0
	s_subb_u32 s11, s9, 0
	s_delay_alu instid0(VALU_DEP_1)
	v_cmp_le_u32_e32 vcc_lo, s6, v2
	s_cmp_ge_u32 s11, s7
	s_cselect_b32 s12, -1, 0
	s_cmp_eq_u32 s11, s7
	v_cndmask_b32_e64 v3, 0, -1, vcc_lo
	s_cselect_b32 vcc_lo, -1, 0
	s_cmp_lg_u32 s10, 0
	v_sub_co_u32 v4, s10, v2, s6
	s_subb_u32 s9, s9, s7
	s_cmp_lg_u32 s10, 0
	v_cndmask_b32_e32 v3, s12, v3, vcc_lo
	s_subb_u32 s9, s9, 0
	s_cmp_lg_u32 s3, 0
	v_cmp_le_u32_e32 vcc_lo, s6, v1
	s_subb_u32 s8, 0, s8
	s_delay_alu instid0(SALU_CYCLE_1)
	s_cmp_ge_u32 s8, s7
	v_cndmask_b32_e64 v5, 0, -1, vcc_lo
	s_cselect_b32 s6, -1, 0
	s_cmp_eq_u32 s8, s7
	v_cmp_ne_u32_e32 vcc_lo, 0, v3
	v_mov_b32_e32 v3, s9
	s_cselect_b32 s3, -1, 0
	s_delay_alu instid0(SALU_CYCLE_1) | instskip(SKIP_1) | instid1(VALU_DEP_3)
	v_cndmask_b32_e64 v5, s6, v5, s3
	v_cndmask_b32_e32 v2, v2, v4, vcc_lo
	v_cndmask_b32_e32 v3, s11, v3, vcc_lo
	s_mov_b32 s3, s15
	s_delay_alu instid0(VALU_DEP_3) | instskip(NEXT) | instid1(VALU_DEP_3)
	v_cmp_ne_u32_e32 vcc_lo, 0, v5
	v_cndmask_b32_e32 v1, v1, v2, vcc_lo
	s_delay_alu instid0(VALU_DEP_3) | instskip(NEXT) | instid1(VALU_DEP_2)
	v_cndmask_b32_e32 v3, s8, v3, vcc_lo
	v_sub_co_u32 v1, vcc_lo, v1, 0
	s_delay_alu instid0(VALU_DEP_2)
	v_subrev_co_ci_u32_e32 v2, vcc_lo, 0, v3, vcc_lo
	s_and_not1_b32 vcc_lo, exec_lo, s3
	s_cbranch_vccnz .LBB11_3
.LBB11_2:
	v_cvt_f32_u32_e32 v1, s22
	s_mov_b32 s7, 0
	s_sub_i32 s6, 0, s22
	s_delay_alu instid0(VALU_DEP_1) | instskip(SKIP_2) | instid1(VALU_DEP_1)
	v_rcp_iflag_f32_e32 v1, v1
	s_waitcnt_depctr 0xfff
	v_mul_f32_e32 v1, 0x4f7ffffe, v1
	v_cvt_u32_f32_e32 v1, v1
	s_delay_alu instid0(VALU_DEP_1) | instskip(NEXT) | instid1(VALU_DEP_1)
	v_readfirstlane_b32 s3, v1
	s_mul_i32 s6, s6, s3
	s_delay_alu instid0(SALU_CYCLE_1) | instskip(NEXT) | instid1(SALU_CYCLE_1)
	s_mul_hi_u32 s6, s3, s6
	s_add_i32 s3, s3, s6
	s_delay_alu instid0(SALU_CYCLE_1) | instskip(NEXT) | instid1(SALU_CYCLE_1)
	s_mul_hi_u32 s3, s14, s3
	s_mul_i32 s3, s3, s22
	s_delay_alu instid0(SALU_CYCLE_1) | instskip(NEXT) | instid1(SALU_CYCLE_1)
	s_sub_i32 s3, s14, s3
	s_sub_i32 s6, s3, s22
	s_cmp_ge_u32 s3, s22
	s_cselect_b32 s3, s6, s3
	s_delay_alu instid0(SALU_CYCLE_1) | instskip(SKIP_2) | instid1(SALU_CYCLE_1)
	s_sub_i32 s6, s3, s22
	s_cmp_ge_u32 s3, s22
	s_cselect_b32 s6, s6, s3
	v_dual_mov_b32 v1, s6 :: v_dual_mov_b32 v2, s7
.LBB11_3:
	s_load_b64 s[22:23], s[0:1], 0x90
	s_mov_b32 s6, 0
	s_mov_b32 s7, s5
	s_delay_alu instid0(SALU_CYCLE_1)
	s_cmp_lg_u64 s[6:7], 0
	s_cbranch_scc0 .LBB11_11
; %bb.4:
	s_ashr_i32 s8, s5, 31
	s_delay_alu instid0(SALU_CYCLE_1) | instskip(SKIP_2) | instid1(SALU_CYCLE_1)
	s_add_u32 s10, s4, s8
	s_mov_b32 s9, s8
	s_addc_u32 s11, s5, s8
	s_xor_b64 s[8:9], s[10:11], s[8:9]
	s_delay_alu instid0(SALU_CYCLE_1) | instskip(SKIP_3) | instid1(VALU_DEP_1)
	v_cvt_f32_u32_e32 v3, s8
	v_cvt_f32_u32_e32 v4, s9
	s_sub_u32 s7, 0, s8
	s_subb_u32 s10, 0, s9
	v_fmamk_f32 v3, v4, 0x4f800000, v3
	s_delay_alu instid0(VALU_DEP_1) | instskip(SKIP_2) | instid1(VALU_DEP_1)
	v_rcp_f32_e32 v3, v3
	s_waitcnt_depctr 0xfff
	v_mul_f32_e32 v3, 0x5f7ffffc, v3
	v_mul_f32_e32 v4, 0x2f800000, v3
	s_delay_alu instid0(VALU_DEP_1) | instskip(NEXT) | instid1(VALU_DEP_1)
	v_trunc_f32_e32 v4, v4
	v_fmamk_f32 v3, v4, 0xcf800000, v3
	v_cvt_u32_f32_e32 v4, v4
	s_delay_alu instid0(VALU_DEP_2) | instskip(NEXT) | instid1(VALU_DEP_2)
	v_cvt_u32_f32_e32 v3, v3
	v_readfirstlane_b32 s3, v4
	s_delay_alu instid0(VALU_DEP_2) | instskip(NEXT) | instid1(VALU_DEP_2)
	v_readfirstlane_b32 s5, v3
	s_mul_i32 s11, s7, s3
	s_delay_alu instid0(VALU_DEP_1)
	s_mul_hi_u32 s24, s7, s5
	s_mul_i32 s12, s10, s5
	s_add_i32 s11, s24, s11
	s_mul_i32 s25, s7, s5
	s_add_i32 s11, s11, s12
	s_mul_hi_u32 s24, s5, s25
	s_mul_hi_u32 s26, s3, s25
	s_mul_i32 s12, s3, s25
	s_mul_hi_u32 s25, s5, s11
	s_mul_i32 s5, s5, s11
	s_mul_hi_u32 s27, s3, s11
	s_add_u32 s5, s24, s5
	s_addc_u32 s24, 0, s25
	s_add_u32 s5, s5, s12
	s_mul_i32 s11, s3, s11
	s_addc_u32 s5, s24, s26
	s_addc_u32 s12, s27, 0
	s_add_u32 s5, s5, s11
	s_addc_u32 s11, 0, s12
	v_add_co_u32 v3, s5, v3, s5
	s_delay_alu instid0(VALU_DEP_1) | instskip(SKIP_1) | instid1(VALU_DEP_1)
	s_cmp_lg_u32 s5, 0
	s_addc_u32 s3, s3, s11
	v_readfirstlane_b32 s5, v3
	s_mul_i32 s11, s7, s3
	s_delay_alu instid0(VALU_DEP_1)
	s_mul_hi_u32 s12, s7, s5
	s_mul_i32 s10, s10, s5
	s_add_i32 s11, s12, s11
	s_mul_i32 s7, s7, s5
	s_add_i32 s11, s11, s10
	s_mul_hi_u32 s12, s3, s7
	s_mul_i32 s24, s3, s7
	s_mul_hi_u32 s7, s5, s7
	s_mul_hi_u32 s25, s5, s11
	s_mul_i32 s5, s5, s11
	s_mul_hi_u32 s10, s3, s11
	s_add_u32 s5, s7, s5
	s_addc_u32 s7, 0, s25
	s_add_u32 s5, s5, s24
	s_mul_i32 s11, s3, s11
	s_addc_u32 s5, s7, s12
	s_addc_u32 s7, s10, 0
	s_add_u32 s5, s5, s11
	s_addc_u32 s7, 0, s7
	v_add_co_u32 v3, s5, v3, s5
	s_delay_alu instid0(VALU_DEP_1) | instskip(SKIP_1) | instid1(VALU_DEP_1)
	s_cmp_lg_u32 s5, 0
	s_addc_u32 s3, s3, s7
	v_readfirstlane_b32 s5, v3
	s_mul_i32 s7, s2, s3
	s_mul_hi_u32 s3, s2, s3
	s_delay_alu instid0(VALU_DEP_1) | instskip(NEXT) | instid1(SALU_CYCLE_1)
	s_mul_hi_u32 s5, s2, s5
	s_add_u32 s5, s5, s7
	s_addc_u32 s3, 0, s3
	s_add_u32 s5, s5, 0
	s_addc_u32 s3, s3, 0
	s_addc_u32 s5, 0, 0
	s_add_u32 s3, s3, 0
	s_addc_u32 s5, 0, s5
	s_mul_hi_u32 s7, s8, s3
	s_mul_i32 s5, s8, s5
	s_mul_i32 s10, s9, s3
	s_mul_i32 s3, s8, s3
	s_add_i32 s5, s7, s5
	v_sub_co_u32 v3, s3, s2, s3
	s_add_i32 s5, s5, s10
	s_delay_alu instid0(SALU_CYCLE_1) | instskip(SKIP_1) | instid1(VALU_DEP_1)
	s_sub_i32 s7, 0, s5
	s_cmp_lg_u32 s3, 0
	v_sub_co_u32 v4, s10, v3, s8
	s_subb_u32 s7, s7, s9
	s_cmp_lg_u32 s10, 0
	s_subb_u32 s11, s7, 0
	s_delay_alu instid0(VALU_DEP_1)
	v_cmp_le_u32_e32 vcc_lo, s8, v4
	s_cmp_ge_u32 s11, s9
	s_cselect_b32 s12, -1, 0
	s_cmp_eq_u32 s11, s9
	v_cndmask_b32_e64 v5, 0, -1, vcc_lo
	s_cselect_b32 vcc_lo, -1, 0
	s_cmp_lg_u32 s10, 0
	v_sub_co_u32 v6, s10, v4, s8
	s_subb_u32 s7, s7, s9
	s_cmp_lg_u32 s10, 0
	v_cndmask_b32_e32 v5, s12, v5, vcc_lo
	s_subb_u32 s7, s7, 0
	s_cmp_lg_u32 s3, 0
	v_cmp_le_u32_e32 vcc_lo, s8, v3
	s_subb_u32 s5, 0, s5
	s_delay_alu instid0(SALU_CYCLE_1)
	s_cmp_ge_u32 s5, s9
	v_cndmask_b32_e64 v7, 0, -1, vcc_lo
	s_cselect_b32 s8, -1, 0
	s_cmp_eq_u32 s5, s9
	v_cmp_ne_u32_e32 vcc_lo, 0, v5
	v_mov_b32_e32 v5, s7
	s_cselect_b32 s3, -1, 0
	s_delay_alu instid0(SALU_CYCLE_1) | instskip(SKIP_1) | instid1(VALU_DEP_3)
	v_cndmask_b32_e64 v7, s8, v7, s3
	v_cndmask_b32_e32 v4, v4, v6, vcc_lo
	v_cndmask_b32_e32 v5, s11, v5, vcc_lo
	s_delay_alu instid0(VALU_DEP_3) | instskip(NEXT) | instid1(VALU_DEP_3)
	v_cmp_ne_u32_e32 vcc_lo, 0, v7
	v_cndmask_b32_e32 v3, v3, v4, vcc_lo
	s_delay_alu instid0(VALU_DEP_3) | instskip(NEXT) | instid1(VALU_DEP_2)
	v_cndmask_b32_e32 v5, s5, v5, vcc_lo
	v_sub_co_u32 v3, vcc_lo, v3, 0
	s_delay_alu instid0(VALU_DEP_2)
	v_subrev_co_ci_u32_e32 v4, vcc_lo, 0, v5, vcc_lo
	s_and_not1_b32 vcc_lo, exec_lo, s6
	s_cbranch_vccnz .LBB11_6
.LBB11_5:
	v_cvt_f32_u32_e32 v3, s4
	s_sub_i32 s5, 0, s4
	s_delay_alu instid0(VALU_DEP_1) | instskip(SKIP_2) | instid1(VALU_DEP_1)
	v_rcp_iflag_f32_e32 v3, v3
	s_waitcnt_depctr 0xfff
	v_mul_f32_e32 v3, 0x4f7ffffe, v3
	v_cvt_u32_f32_e32 v3, v3
	s_delay_alu instid0(VALU_DEP_1) | instskip(NEXT) | instid1(VALU_DEP_1)
	v_readfirstlane_b32 s3, v3
	s_mul_i32 s5, s5, s3
	s_delay_alu instid0(SALU_CYCLE_1) | instskip(NEXT) | instid1(SALU_CYCLE_1)
	s_mul_hi_u32 s5, s3, s5
	s_add_i32 s3, s3, s5
	s_delay_alu instid0(SALU_CYCLE_1) | instskip(NEXT) | instid1(SALU_CYCLE_1)
	s_mul_hi_u32 s3, s2, s3
	s_mul_i32 s3, s3, s4
	s_delay_alu instid0(SALU_CYCLE_1) | instskip(NEXT) | instid1(SALU_CYCLE_1)
	s_sub_i32 s3, s2, s3
	s_sub_i32 s5, s3, s4
	s_cmp_ge_u32 s3, s4
	s_cselect_b32 s3, s5, s3
	s_mov_b32 s5, 0
	s_sub_i32 s6, s3, s4
	s_cmp_ge_u32 s3, s4
	s_cselect_b32 s4, s6, s3
	s_delay_alu instid0(SALU_CYCLE_1)
	v_dual_mov_b32 v3, s4 :: v_dual_mov_b32 v4, s5
.LBB11_6:
	s_load_b64 s[24:25], s[0:1], 0xa0
	s_waitcnt lgkmcnt(0)
	v_cmp_le_f32_e64 s3, s23, 0
	v_mov_b32_e32 v6, 1.0
	s_delay_alu instid0(VALU_DEP_2)
	s_and_b32 vcc_lo, exec_lo, s3
	s_cbranch_vccnz .LBB11_8
; %bb.7:
	s_clause 0x1
	s_load_b32 s3, s[0:1], 0x28
	s_load_b64 s[4:5], s[0:1], 0x98
	s_add_i32 s7, s14, 1
	s_waitcnt lgkmcnt(0)
	s_sub_i32 s6, s14, s3
	v_mov_b32_e32 v5, s4
	s_lshl_b32 s6, s6, 1
	s_delay_alu instid0(SALU_CYCLE_1)
	s_or_b32 s4, s6, 1
	s_cmp_lt_u32 s14, s3
	s_cselect_b32 vcc_lo, -1, 0
	v_cndmask_b32_e32 v7, s5, v5, vcc_lo
	s_and_b32 s3, vcc_lo, exec_lo
	s_cselect_b32 s3, s7, s4
	s_mov_b32 s4, 0x3e76c4e1
	v_cvt_f32_i32_e32 v5, s3
	v_cmp_neq_f32_e32 vcc_lo, 1.0, v7
	s_delay_alu instid0(VALU_DEP_2) | instskip(NEXT) | instid1(VALU_DEP_1)
	v_cndmask_b32_e32 v8, 1.0, v5, vcc_lo
	v_cmp_eq_f32_e32 vcc_lo, 0, v8
	v_cndmask_b32_e64 v9, |v7|, 1.0, vcc_lo
	s_delay_alu instid0(VALU_DEP_1) | instskip(NEXT) | instid1(VALU_DEP_1)
	v_frexp_mant_f32_e32 v5, v9
	v_cmp_gt_f32_e64 s3, 0x3f2aaaab, v5
	s_delay_alu instid0(VALU_DEP_1) | instskip(NEXT) | instid1(VALU_DEP_1)
	v_cndmask_b32_e64 v6, 1.0, 2.0, s3
	v_mul_f32_e32 v5, v5, v6
	s_delay_alu instid0(VALU_DEP_1) | instskip(SKIP_1) | instid1(VALU_DEP_2)
	v_add_f32_e32 v6, 1.0, v5
	v_add_f32_e32 v11, -1.0, v5
	v_rcp_f32_e32 v10, v6
	s_waitcnt_depctr 0xfff
	v_mul_f32_e32 v12, v11, v10
	s_delay_alu instid0(VALU_DEP_1) | instskip(NEXT) | instid1(VALU_DEP_1)
	v_dual_add_f32 v13, -1.0, v6 :: v_dual_mul_f32 v14, v6, v12
	v_sub_f32_e32 v5, v5, v13
	v_cndmask_b32_e64 v7, v7, 1.0, vcc_lo
	s_delay_alu instid0(VALU_DEP_3) | instskip(NEXT) | instid1(VALU_DEP_2)
	v_fma_f32 v6, v12, v6, -v14
	v_cmp_eq_f32_e64 s5, 0, v7
	s_delay_alu instid0(VALU_DEP_2) | instskip(NEXT) | instid1(VALU_DEP_1)
	v_fmac_f32_e32 v6, v12, v5
	v_add_f32_e32 v5, v14, v6
	s_delay_alu instid0(VALU_DEP_1) | instskip(NEXT) | instid1(VALU_DEP_1)
	v_dual_sub_f32 v14, v5, v14 :: v_dual_sub_f32 v13, v11, v5
	v_dual_sub_f32 v6, v14, v6 :: v_dual_sub_f32 v11, v11, v13
	s_delay_alu instid0(VALU_DEP_1) | instskip(NEXT) | instid1(VALU_DEP_1)
	v_sub_f32_e32 v5, v11, v5
	v_add_f32_e32 v5, v6, v5
	s_delay_alu instid0(VALU_DEP_1) | instskip(NEXT) | instid1(VALU_DEP_1)
	v_add_f32_e32 v5, v13, v5
	v_mul_f32_e32 v5, v10, v5
	s_delay_alu instid0(VALU_DEP_1) | instskip(NEXT) | instid1(VALU_DEP_1)
	v_add_f32_e32 v10, v12, v5
	v_sub_f32_e32 v6, v10, v12
	v_mul_f32_e32 v11, v10, v10
	s_delay_alu instid0(VALU_DEP_2) | instskip(NEXT) | instid1(VALU_DEP_2)
	v_sub_f32_e32 v12, v5, v6
	v_fma_f32 v13, v10, v10, -v11
	s_delay_alu instid0(VALU_DEP_2) | instskip(NEXT) | instid1(VALU_DEP_1)
	v_add_f32_e32 v5, v12, v12
	v_fmac_f32_e32 v13, v10, v5
	v_cvt_f64_f32_e32 v[5:6], v9
	s_delay_alu instid0(VALU_DEP_2) | instskip(NEXT) | instid1(VALU_DEP_1)
	v_add_f32_e32 v14, v11, v13
	v_fmaak_f32 v15, s4, v14, 0x3e91f4c4
	v_sub_f32_e32 v11, v14, v11
	v_mul_f32_e32 v18, v10, v14
	s_delay_alu instid0(VALU_DEP_3) | instskip(NEXT) | instid1(VALU_DEP_3)
	v_fmaak_f32 v15, v14, v15, 0x3ecccdef
	v_sub_f32_e32 v11, v13, v11
	s_delay_alu instid0(VALU_DEP_2) | instskip(NEXT) | instid1(VALU_DEP_1)
	v_mul_f32_e32 v16, v14, v15
	v_fma_f32 v13, v14, v15, -v16
	s_delay_alu instid0(VALU_DEP_1) | instskip(NEXT) | instid1(VALU_DEP_1)
	v_fmac_f32_e32 v13, v11, v15
	v_add_f32_e32 v15, v16, v13
	v_frexp_exp_i32_f64_e32 v5, v[5:6]
	s_delay_alu instid0(VALU_DEP_2) | instskip(NEXT) | instid1(VALU_DEP_1)
	v_sub_f32_e32 v16, v15, v16
	v_sub_f32_e32 v6, v13, v16
	v_fma_f32 v16, v14, v10, -v18
	s_delay_alu instid0(VALU_DEP_2) | instskip(NEXT) | instid1(VALU_DEP_2)
	v_add_f32_e32 v6, 0x31739010, v6
	v_dual_add_f32 v17, 0x3f2aaaaa, v15 :: v_dual_fmac_f32 v16, v14, v12
	v_ldexp_f32 v12, v12, 1
	s_delay_alu instid0(VALU_DEP_2) | instskip(NEXT) | instid1(VALU_DEP_1)
	v_dual_add_f32 v13, 0xbf2aaaaa, v17 :: v_dual_fmac_f32 v16, v11, v10
	v_sub_f32_e32 v13, v15, v13
	s_delay_alu instid0(VALU_DEP_1) | instskip(NEXT) | instid1(VALU_DEP_3)
	v_add_f32_e32 v6, v6, v13
	v_add_f32_e32 v13, v18, v16
	s_delay_alu instid0(VALU_DEP_2) | instskip(NEXT) | instid1(VALU_DEP_1)
	v_add_f32_e32 v11, v17, v6
	v_sub_f32_e32 v14, v17, v11
	s_delay_alu instid0(VALU_DEP_3) | instskip(SKIP_2) | instid1(VALU_DEP_4)
	v_mul_f32_e32 v15, v13, v11
	v_sub_f32_e32 v17, v13, v18
	v_subrev_co_ci_u32_e64 v5, s3, 0, v5, s3
	v_add_f32_e32 v6, v6, v14
	s_delay_alu instid0(VALU_DEP_4) | instskip(NEXT) | instid1(VALU_DEP_4)
	v_fma_f32 v14, v13, v11, -v15
	v_sub_f32_e32 v16, v16, v17
	s_delay_alu instid0(VALU_DEP_4) | instskip(NEXT) | instid1(VALU_DEP_3)
	v_cvt_f32_i32_e32 v5, v5
	v_fmac_f32_e32 v14, v13, v6
	v_ldexp_f32 v6, v10, 1
	s_delay_alu instid0(VALU_DEP_2) | instskip(NEXT) | instid1(VALU_DEP_1)
	v_fmac_f32_e32 v14, v16, v11
	v_add_f32_e32 v10, v15, v14
	s_delay_alu instid0(VALU_DEP_1) | instskip(NEXT) | instid1(VALU_DEP_1)
	v_add_f32_e32 v11, v6, v10
	v_dual_sub_f32 v6, v11, v6 :: v_dual_sub_f32 v13, v10, v15
	s_delay_alu instid0(VALU_DEP_1) | instskip(NEXT) | instid1(VALU_DEP_2)
	v_sub_f32_e32 v6, v10, v6
	v_sub_f32_e32 v13, v14, v13
	s_delay_alu instid0(VALU_DEP_1) | instskip(NEXT) | instid1(VALU_DEP_1)
	v_add_f32_e32 v10, v12, v13
	v_dual_mul_f32 v15, 0x3f317218, v5 :: v_dual_add_f32 v6, v10, v6
	s_delay_alu instid0(VALU_DEP_1) | instskip(NEXT) | instid1(VALU_DEP_2)
	v_fma_f32 v14, 0x3f317218, v5, -v15
	v_add_f32_e32 v12, v11, v6
	s_delay_alu instid0(VALU_DEP_1) | instskip(NEXT) | instid1(VALU_DEP_1)
	v_sub_f32_e32 v11, v12, v11
	v_dual_fmamk_f32 v5, v5, 0xb102e308, v14 :: v_dual_sub_f32 v6, v6, v11
	s_delay_alu instid0(VALU_DEP_1) | instskip(NEXT) | instid1(VALU_DEP_1)
	v_add_f32_e32 v10, v15, v5
	v_add_f32_e32 v13, v10, v12
	s_delay_alu instid0(VALU_DEP_1) | instskip(NEXT) | instid1(VALU_DEP_1)
	v_dual_sub_f32 v15, v10, v15 :: v_dual_sub_f32 v14, v13, v10
	v_sub_f32_e32 v16, v13, v14
	s_delay_alu instid0(VALU_DEP_2) | instskip(NEXT) | instid1(VALU_DEP_2)
	v_sub_f32_e32 v5, v5, v15
	v_dual_sub_f32 v11, v12, v14 :: v_dual_sub_f32 v10, v10, v16
	s_delay_alu instid0(VALU_DEP_2) | instskip(NEXT) | instid1(VALU_DEP_2)
	v_add_f32_e32 v12, v5, v6
	v_add_f32_e32 v10, v11, v10
	s_delay_alu instid0(VALU_DEP_1) | instskip(NEXT) | instid1(VALU_DEP_1)
	v_add_f32_e32 v10, v12, v10
	v_dual_sub_f32 v11, v12, v5 :: v_dual_add_f32 v14, v13, v10
	s_delay_alu instid0(VALU_DEP_1) | instskip(SKIP_1) | instid1(VALU_DEP_3)
	v_sub_f32_e32 v12, v12, v11
	v_sub_f32_e32 v6, v6, v11
	;; [unrolled: 1-line block ×3, first 2 shown]
	s_delay_alu instid0(VALU_DEP_3) | instskip(NEXT) | instid1(VALU_DEP_1)
	v_sub_f32_e32 v5, v5, v12
	v_add_f32_e32 v5, v6, v5
	s_delay_alu instid0(VALU_DEP_3) | instskip(NEXT) | instid1(VALU_DEP_1)
	v_sub_f32_e32 v6, v10, v11
	v_add_f32_e32 v5, v5, v6
	s_delay_alu instid0(VALU_DEP_1) | instskip(NEXT) | instid1(VALU_DEP_1)
	v_add_f32_e32 v6, v14, v5
	v_mul_f32_e32 v11, v8, v6
	v_sub_f32_e32 v10, v6, v14
	s_delay_alu instid0(VALU_DEP_2) | instskip(NEXT) | instid1(VALU_DEP_2)
	v_fma_f32 v6, v8, v6, -v11
	v_sub_f32_e32 v5, v5, v10
	v_cmp_class_f32_e64 s3, v11, 0x204
	s_delay_alu instid0(VALU_DEP_2) | instskip(NEXT) | instid1(VALU_DEP_1)
	v_fmac_f32_e32 v6, v8, v5
	v_add_f32_e32 v5, v11, v6
	s_delay_alu instid0(VALU_DEP_1) | instskip(NEXT) | instid1(VALU_DEP_1)
	v_cndmask_b32_e64 v10, v5, v11, s3
	v_cmp_eq_f32_e64 s3, 0x42b17218, v10
	s_delay_alu instid0(VALU_DEP_1) | instskip(SKIP_1) | instid1(VALU_DEP_2)
	v_cndmask_b32_e64 v12, 0, 0x37000000, s3
	v_cmp_neq_f32_e64 s3, 0x7f800000, |v10|
	v_sub_f32_e32 v13, v10, v12
	v_trunc_f32_e32 v10, v8
	s_delay_alu instid0(VALU_DEP_2) | instskip(NEXT) | instid1(VALU_DEP_1)
	v_mul_f32_e32 v14, 0x3fb8aa3b, v13
	v_fma_f32 v15, 0x3fb8aa3b, v13, -v14
	v_rndne_f32_e32 v16, v14
	s_delay_alu instid0(VALU_DEP_1) | instskip(NEXT) | instid1(VALU_DEP_1)
	v_dual_fmamk_f32 v15, v13, 0x32a5705f, v15 :: v_dual_sub_f32 v14, v14, v16
	v_add_f32_e32 v14, v14, v15
	v_sub_f32_e32 v5, v5, v11
	v_cvt_i32_f32_e32 v11, v16
	s_delay_alu instid0(VALU_DEP_3) | instskip(NEXT) | instid1(VALU_DEP_2)
	v_exp_f32_e32 v14, v14
	v_sub_f32_e32 v5, v6, v5
	s_delay_alu instid0(VALU_DEP_1)
	v_cndmask_b32_e64 v5, 0, v5, s3
	v_cmp_ngt_f32_e64 s3, 0xc2ce8ed0, v13
	s_waitcnt_depctr 0xfff
	v_ldexp_f32 v6, v14, v11
	v_mul_f32_e32 v11, 0.5, v8
	v_add_f32_e32 v5, v12, v5
	s_delay_alu instid0(VALU_DEP_3) | instskip(NEXT) | instid1(VALU_DEP_3)
	v_cndmask_b32_e64 v6, 0, v6, s3
	v_trunc_f32_e32 v14, v11
	v_cmp_nlt_f32_e64 s3, 0x42b17218, v13
	s_delay_alu instid0(VALU_DEP_2) | instskip(NEXT) | instid1(VALU_DEP_2)
	v_cmp_neq_f32_e64 s4, v14, v11
	v_cndmask_b32_e64 v6, 0x7f800000, v6, s3
	v_cmp_eq_f32_e64 s3, v10, v8
	s_delay_alu instid0(VALU_DEP_2) | instskip(NEXT) | instid1(VALU_DEP_2)
	v_fma_f32 v5, v6, v5, v6
	s_and_b32 vcc_lo, s3, s4
	v_cmp_class_f32_e64 s4, v6, 0x204
	v_cndmask_b32_e32 v10, 1.0, v7, vcc_lo
	s_delay_alu instid0(VALU_DEP_2) | instskip(SKIP_1) | instid1(VALU_DEP_2)
	v_cndmask_b32_e64 v5, v5, v6, s4
	v_cmp_gt_f32_e64 s4, 0, v8
	v_bfi_b32 v5, 0x7fffffff, v5, v10
	s_delay_alu instid0(VALU_DEP_2)
	s_xor_b32 s4, s4, s5
	v_cndmask_b32_e32 v10, 0, v7, vcc_lo
	v_cndmask_b32_e64 v6, 0x7f800000, 0, s4
	v_cmp_eq_f32_e32 vcc_lo, 0x7f800000, v9
	v_cndmask_b32_e64 v8, 0x7fc00000, v5, s3
	v_cmp_gt_f32_e64 s3, 0, v7
	s_delay_alu instid0(VALU_DEP_4) | instskip(SKIP_1) | instid1(VALU_DEP_2)
	v_bfi_b32 v6, 0x7fffffff, v6, v10
	s_or_b32 vcc_lo, vcc_lo, s5
	v_cndmask_b32_e64 v5, v5, v8, s3
	s_delay_alu instid0(VALU_DEP_1) | instskip(SKIP_1) | instid1(VALU_DEP_2)
	v_cndmask_b32_e32 v5, v5, v6, vcc_lo
	v_cmp_o_f32_e32 vcc_lo, v7, v7
	v_cndmask_b32_e32 v6, 0x7fc00000, v5, vcc_lo
.LBB11_8:
	s_load_b256 s[4:11], s[0:1], 0x0
	s_waitcnt lgkmcnt(0)
	s_cmp_lg_u64 s[8:9], 0
	s_cselect_b32 s3, -1, 0
	s_cmp_eq_u64 s[8:9], 0
	s_cbranch_scc1 .LBB11_12
; %bb.9:
	s_lshl_b64 s[0:1], s[14:15], 2
	s_delay_alu instid0(SALU_CYCLE_1)
	s_add_u32 s0, s8, s0
	s_addc_u32 s1, s9, s1
	s_load_b32 s12, s[0:1], 0x0
	s_branch .LBB11_13
.LBB11_10:
                                        ; implicit-def: $vgpr1_vgpr2
	s_branch .LBB11_2
.LBB11_11:
                                        ; implicit-def: $vgpr3_vgpr4
	s_branch .LBB11_5
.LBB11_12:
	s_mov_b32 s12, 0xff800000
.LBB11_13:
	s_mul_i32 s0, s25, s2
	v_dual_mov_b32 v8, 0 :: v_dual_lshlrev_b32 v5, 2, v0
	s_add_i32 s0, s0, s14
	s_delay_alu instid0(SALU_CYCLE_1) | instskip(NEXT) | instid1(SALU_CYCLE_1)
	s_mul_i32 s0, s0, s24
	s_add_i32 s0, s0, s13
	s_delay_alu instid0(SALU_CYCLE_1) | instskip(NEXT) | instid1(SALU_CYCLE_1)
	s_ashr_i32 s1, s0, 31
	s_lshl_b64 s[24:25], s[0:1], 7
	s_delay_alu instid0(SALU_CYCLE_1) | instskip(SKIP_4) | instid1(SALU_CYCLE_1)
	s_add_u32 s4, s4, s24
	s_addc_u32 s5, s5, s25
	s_cmp_eq_u64 s[6:7], 0
	global_load_b32 v7, v5, s[4:5]
	s_cselect_b32 s2, -1, 0
	s_and_b32 vcc_lo, exec_lo, s2
	s_cbranch_vccnz .LBB11_15
; %bb.14:
	v_mul_lo_u32 v8, v1, s19
	v_mul_hi_u32 v9, v1, s18
	v_mul_lo_u32 v10, v3, s21
	v_mul_hi_u32 v11, v3, s20
	v_mul_lo_u32 v2, v2, s18
	v_mul_lo_u32 v1, v1, s18
	;; [unrolled: 1-line block ×4, first 2 shown]
	s_mul_i32 s4, s17, s13
	v_add_nc_u32_e32 v8, v9, v8
	s_mul_hi_u32 s5, s16, s13
	v_add_nc_u32_e32 v9, v11, v10
	s_mul_i32 s13, s16, s13
	s_add_i32 s5, s5, s4
	v_add_nc_u32_e32 v2, v8, v2
	v_add_co_u32 v1, vcc_lo, v1, s13
	v_add_nc_u32_e32 v4, v9, v4
	s_delay_alu instid0(VALU_DEP_3) | instskip(NEXT) | instid1(VALU_DEP_3)
	v_add_co_ci_u32_e32 v2, vcc_lo, s5, v2, vcc_lo
	v_add_co_u32 v1, vcc_lo, v1, v3
	v_lshlrev_b32_e32 v3, 1, v0
	s_delay_alu instid0(VALU_DEP_3) | instskip(NEXT) | instid1(VALU_DEP_1)
	v_add_co_ci_u32_e32 v2, vcc_lo, v2, v4, vcc_lo
	v_lshrrev_b64 v[1:2], 1, v[1:2]
	s_delay_alu instid0(VALU_DEP_1) | instskip(NEXT) | instid1(VALU_DEP_2)
	v_cndmask_b32_e64 v2, v2, 0, s2
	v_cndmask_b32_e64 v1, v1, 0, s2
	s_delay_alu instid0(VALU_DEP_1) | instskip(NEXT) | instid1(VALU_DEP_1)
	v_lshlrev_b64 v[1:2], 1, v[1:2]
	v_add_co_u32 v1, vcc_lo, s6, v1
	s_delay_alu instid0(VALU_DEP_2) | instskip(NEXT) | instid1(VALU_DEP_2)
	v_add_co_ci_u32_e32 v2, vcc_lo, s7, v2, vcc_lo
	v_readfirstlane_b32 s4, v1
	s_delay_alu instid0(VALU_DEP_2) | instskip(SKIP_3) | instid1(VALU_DEP_1)
	v_readfirstlane_b32 s5, v2
	global_load_u16 v1, v3, s[4:5]
	s_waitcnt vmcnt(0)
	v_cvt_f32_f16_e32 v1, v1
	v_mul_f32_e32 v8, v6, v1
.LBB11_15:
	v_mbcnt_lo_u32_b32 v1, -1, 0
	s_waitcnt lgkmcnt(0)
	v_max_f32_e64 v3, s12, s12
	s_lshl_b64 s[0:1], s[0:1], 5
	s_delay_alu instid0(VALU_DEP_2)
	v_xor_b32_e32 v2, 16, v1
	v_xor_b32_e32 v6, 8, v1
	;; [unrolled: 1-line block ×3, first 2 shown]
	s_waitcnt vmcnt(0)
	v_fmac_f32_e32 v8, s22, v7
	v_xor_b32_e32 v7, 4, v1
	v_cmp_gt_i32_e32 vcc_lo, 32, v2
	v_xor_b32_e32 v10, 1, v1
	v_cndmask_b32_e32 v2, v1, v2, vcc_lo
	v_cmp_gt_i32_e32 vcc_lo, 32, v6
	v_cndmask_b32_e32 v6, v1, v6, vcc_lo
	v_cmp_gt_i32_e32 vcc_lo, 32, v7
	;; [unrolled: 2-line block ×3, first 2 shown]
	v_cndmask_b32_e32 v9, v1, v9, vcc_lo
	v_dual_max_f32 v3, v3, v8 :: v_dual_lshlrev_b32 v4, 2, v2
	v_cmp_gt_i32_e32 vcc_lo, 32, v10
	s_delay_alu instid0(VALU_DEP_3) | instskip(SKIP_2) | instid1(VALU_DEP_1)
	v_lshlrev_b32_e32 v9, 2, v9
	ds_bpermute_b32 v2, v4, v3
	v_cndmask_b32_e32 v1, v1, v10, vcc_lo
	v_lshlrev_b32_e32 v10, 2, v1
	v_lshlrev_b32_e32 v7, 2, v7
	;; [unrolled: 1-line block ×3, first 2 shown]
	s_waitcnt lgkmcnt(0)
	v_max_f32_e32 v2, v2, v2
	s_delay_alu instid0(VALU_DEP_1) | instskip(SKIP_3) | instid1(VALU_DEP_1)
	v_max_f32_e32 v2, v3, v2
	ds_bpermute_b32 v3, v6, v2
	s_waitcnt lgkmcnt(0)
	v_max_f32_e32 v3, v3, v3
	v_max_f32_e32 v2, v2, v3
	ds_bpermute_b32 v3, v7, v2
	s_waitcnt lgkmcnt(0)
	v_max_f32_e32 v3, v3, v3
	s_delay_alu instid0(VALU_DEP_1) | instskip(SKIP_3) | instid1(VALU_DEP_1)
	v_max_f32_e32 v2, v2, v3
	ds_bpermute_b32 v3, v9, v2
	s_waitcnt lgkmcnt(0)
	v_max_f32_e32 v3, v3, v3
	v_max_f32_e32 v1, v2, v3
	ds_bpermute_b32 v2, v10, v1
	s_waitcnt lgkmcnt(0)
	v_max_f32_e32 v2, v2, v2
	s_delay_alu instid0(VALU_DEP_1) | instskip(NEXT) | instid1(VALU_DEP_1)
	v_max_f32_e32 v2, v1, v2
	v_sub_f32_e32 v1, v8, v2
	s_delay_alu instid0(VALU_DEP_1) | instskip(SKIP_1) | instid1(VALU_DEP_2)
	v_mul_f32_e32 v3, 0x3fb8aa3b, v1
	v_cmp_ngt_f32_e32 vcc_lo, 0xc2ce8ed0, v1
	v_fma_f32 v8, 0x3fb8aa3b, v1, -v3
	v_rndne_f32_e32 v11, v3
	s_delay_alu instid0(VALU_DEP_1) | instskip(NEXT) | instid1(VALU_DEP_1)
	v_dual_fmac_f32 v8, 0x32a5705f, v1 :: v_dual_sub_f32 v3, v3, v11
	v_add_f32_e32 v3, v3, v8
	v_cvt_i32_f32_e32 v8, v11
	s_delay_alu instid0(VALU_DEP_2) | instskip(SKIP_2) | instid1(VALU_DEP_1)
	v_exp_f32_e32 v3, v3
	s_waitcnt_depctr 0xfff
	v_ldexp_f32 v3, v3, v8
	v_cndmask_b32_e32 v3, 0, v3, vcc_lo
	v_cmp_nlt_f32_e32 vcc_lo, 0x42b17218, v1
	s_delay_alu instid0(VALU_DEP_2)
	v_cndmask_b32_e32 v1, 0x7f800000, v3, vcc_lo
	s_and_not1_b32 vcc_lo, exec_lo, s3
	ds_bpermute_b32 v3, v4, v1
	s_waitcnt lgkmcnt(0)
	v_add_f32_e32 v3, v1, v3
	ds_bpermute_b32 v4, v6, v3
	v_lshl_add_u32 v6, v0, 2, 0
	ds_store_b32 v6, v1 offset:128
	s_waitcnt lgkmcnt(1)
	v_add_f32_e32 v3, v3, v4
	ds_bpermute_b32 v4, v7, v3
	s_waitcnt lgkmcnt(0)
	v_add_f32_e32 v3, v3, v4
	ds_bpermute_b32 v4, v9, v3
	;; [unrolled: 3-line block ×3, first 2 shown]
	s_waitcnt lgkmcnt(0)
	v_add_f32_e32 v0, v3, v4
	s_cbranch_vccnz .LBB11_17
; %bb.16:
	s_lshl_b64 s[2:3], s[14:15], 2
	s_delay_alu instid0(SALU_CYCLE_1) | instskip(SKIP_4) | instid1(VALU_DEP_1)
	s_add_u32 s2, s8, s2
	s_addc_u32 s3, s9, s3
	s_load_b32 s2, s[2:3], 0x0
	s_waitcnt lgkmcnt(0)
	v_sub_f32_e32 v2, s2, v2
	v_mul_f32_e32 v3, 0x3fb8aa3b, v2
	s_delay_alu instid0(VALU_DEP_1) | instskip(SKIP_1) | instid1(VALU_DEP_2)
	v_fma_f32 v4, 0x3fb8aa3b, v2, -v3
	v_rndne_f32_e32 v6, v3
	v_fmac_f32_e32 v4, 0x32a5705f, v2
	s_delay_alu instid0(VALU_DEP_2) | instskip(NEXT) | instid1(VALU_DEP_1)
	v_sub_f32_e32 v3, v3, v6
	v_add_f32_e32 v3, v3, v4
	v_cvt_i32_f32_e32 v4, v6
	v_cmp_ngt_f32_e32 vcc_lo, 0xc2ce8ed0, v2
	s_delay_alu instid0(VALU_DEP_3) | instskip(SKIP_2) | instid1(VALU_DEP_1)
	v_exp_f32_e32 v3, v3
	s_waitcnt_depctr 0xfff
	v_ldexp_f32 v3, v3, v4
	v_cndmask_b32_e32 v3, 0, v3, vcc_lo
	v_cmp_nlt_f32_e32 vcc_lo, 0x42b17218, v2
	s_delay_alu instid0(VALU_DEP_2) | instskip(NEXT) | instid1(VALU_DEP_1)
	v_cndmask_b32_e32 v2, 0x7f800000, v3, vcc_lo
	v_add_f32_e32 v0, v0, v2
.LBB11_17:
	s_delay_alu instid0(VALU_DEP_1) | instskip(SKIP_1) | instid1(SALU_CYCLE_1)
	v_div_scale_f32 v2, null, v0, v0, 1.0
	s_lshl_b64 s[0:1], s[0:1], 2
	s_add_u32 s0, s10, s0
	s_delay_alu instid0(VALU_DEP_1) | instskip(SKIP_3) | instid1(VALU_DEP_1)
	v_rcp_f32_e32 v3, v2
	s_addc_u32 s1, s11, s1
	s_waitcnt_depctr 0xfff
	v_fma_f32 v4, -v2, v3, 1.0
	v_fmac_f32_e32 v3, v4, v3
	v_div_scale_f32 v4, vcc_lo, 1.0, v0, 1.0
	s_delay_alu instid0(VALU_DEP_1) | instskip(NEXT) | instid1(VALU_DEP_1)
	v_mul_f32_e32 v6, v4, v3
	v_fma_f32 v7, -v2, v6, v4
	s_delay_alu instid0(VALU_DEP_1) | instskip(NEXT) | instid1(VALU_DEP_1)
	v_fmac_f32_e32 v6, v7, v3
	v_fma_f32 v2, -v2, v6, v4
	s_delay_alu instid0(VALU_DEP_1) | instskip(NEXT) | instid1(VALU_DEP_1)
	v_div_fmas_f32 v2, v2, v3, v6
	v_div_fixup_f32 v0, v2, v0, 1.0
	s_delay_alu instid0(VALU_DEP_1)
	v_mul_f32_e32 v0, v1, v0
	global_store_b32 v5, v0, s[0:1]
	s_nop 0
	s_sendmsg sendmsg(MSG_DEALLOC_VGPRS)
	s_endpgm
	.section	.rodata,"a",@progbits
	.p2align	6, 0x0
	.amdhsa_kernel _ZL12soft_max_f32ILb1ELi32ELi32E6__halfEvPKfPKT2_S2_Pf15soft_max_params
		.amdhsa_group_segment_fixed_size 0
		.amdhsa_private_segment_fixed_size 0
		.amdhsa_kernarg_size 416
		.amdhsa_user_sgpr_count 13
		.amdhsa_user_sgpr_dispatch_ptr 0
		.amdhsa_user_sgpr_queue_ptr 0
		.amdhsa_user_sgpr_kernarg_segment_ptr 1
		.amdhsa_user_sgpr_dispatch_id 0
		.amdhsa_user_sgpr_private_segment_size 0
		.amdhsa_wavefront_size32 1
		.amdhsa_uses_dynamic_stack 0
		.amdhsa_enable_private_segment 0
		.amdhsa_system_sgpr_workgroup_id_x 1
		.amdhsa_system_sgpr_workgroup_id_y 1
		.amdhsa_system_sgpr_workgroup_id_z 1
		.amdhsa_system_sgpr_workgroup_info 0
		.amdhsa_system_vgpr_workitem_id 0
		.amdhsa_next_free_vgpr 19
		.amdhsa_next_free_sgpr 28
		.amdhsa_reserve_vcc 1
		.amdhsa_float_round_mode_32 0
		.amdhsa_float_round_mode_16_64 0
		.amdhsa_float_denorm_mode_32 3
		.amdhsa_float_denorm_mode_16_64 3
		.amdhsa_dx10_clamp 1
		.amdhsa_ieee_mode 1
		.amdhsa_fp16_overflow 0
		.amdhsa_workgroup_processor_mode 1
		.amdhsa_memory_ordered 1
		.amdhsa_forward_progress 0
		.amdhsa_shared_vgpr_count 0
		.amdhsa_exception_fp_ieee_invalid_op 0
		.amdhsa_exception_fp_denorm_src 0
		.amdhsa_exception_fp_ieee_div_zero 0
		.amdhsa_exception_fp_ieee_overflow 0
		.amdhsa_exception_fp_ieee_underflow 0
		.amdhsa_exception_fp_ieee_inexact 0
		.amdhsa_exception_int_div_zero 0
	.end_amdhsa_kernel
	.section	.text._ZL12soft_max_f32ILb1ELi32ELi32E6__halfEvPKfPKT2_S2_Pf15soft_max_params,"axG",@progbits,_ZL12soft_max_f32ILb1ELi32ELi32E6__halfEvPKfPKT2_S2_Pf15soft_max_params,comdat
.Lfunc_end11:
	.size	_ZL12soft_max_f32ILb1ELi32ELi32E6__halfEvPKfPKT2_S2_Pf15soft_max_params, .Lfunc_end11-_ZL12soft_max_f32ILb1ELi32ELi32E6__halfEvPKfPKT2_S2_Pf15soft_max_params
                                        ; -- End function
	.section	.AMDGPU.csdata,"",@progbits
; Kernel info:
; codeLenInByte = 3880
; NumSgprs: 30
; NumVgprs: 19
; ScratchSize: 0
; MemoryBound: 0
; FloatMode: 240
; IeeeMode: 1
; LDSByteSize: 0 bytes/workgroup (compile time only)
; SGPRBlocks: 3
; VGPRBlocks: 2
; NumSGPRsForWavesPerEU: 30
; NumVGPRsForWavesPerEU: 19
; Occupancy: 16
; WaveLimiterHint : 1
; COMPUTE_PGM_RSRC2:SCRATCH_EN: 0
; COMPUTE_PGM_RSRC2:USER_SGPR: 13
; COMPUTE_PGM_RSRC2:TRAP_HANDLER: 0
; COMPUTE_PGM_RSRC2:TGID_X_EN: 1
; COMPUTE_PGM_RSRC2:TGID_Y_EN: 1
; COMPUTE_PGM_RSRC2:TGID_Z_EN: 1
; COMPUTE_PGM_RSRC2:TIDIG_COMP_CNT: 0
	.section	.text._ZL12soft_max_f32ILb1ELi0ELi0E6__halfEvPKfPKT2_S2_Pf15soft_max_params,"axG",@progbits,_ZL12soft_max_f32ILb1ELi0ELi0E6__halfEvPKfPKT2_S2_Pf15soft_max_params,comdat
	.globl	_ZL12soft_max_f32ILb1ELi0ELi0E6__halfEvPKfPKT2_S2_Pf15soft_max_params ; -- Begin function _ZL12soft_max_f32ILb1ELi0ELi0E6__halfEvPKfPKT2_S2_Pf15soft_max_params
	.p2align	8
	.type	_ZL12soft_max_f32ILb1ELi0ELi0E6__halfEvPKfPKT2_S2_Pf15soft_max_params,@function
_ZL12soft_max_f32ILb1ELi0ELi0E6__halfEvPKfPKT2_S2_Pf15soft_max_params: ; @_ZL12soft_max_f32ILb1ELi0ELi0E6__halfEvPKfPKT2_S2_Pf15soft_max_params
; %bb.0:
	s_clause 0x1
	s_load_b256 s[20:27], s[0:1], 0x68
	s_load_b64 s[4:5], s[0:1], 0x88
	s_mov_b32 s19, 0
	s_add_u32 s6, s0, 0xa0
	s_mov_b32 s2, s19
	s_addc_u32 s7, s1, 0
	s_mov_b32 s18, s14
	s_mov_b32 s32, 0
	s_waitcnt lgkmcnt(0)
	s_mov_b32 s3, s27
	s_delay_alu instid0(SALU_CYCLE_1)
	s_cmp_lg_u64 s[2:3], 0
	s_cbranch_scc0 .LBB12_10
; %bb.1:
	s_ashr_i32 s2, s27, 31
	s_delay_alu instid0(SALU_CYCLE_1) | instskip(SKIP_2) | instid1(SALU_CYCLE_1)
	s_add_u32 s8, s26, s2
	s_mov_b32 s3, s2
	s_addc_u32 s9, s27, s2
	s_xor_b64 s[2:3], s[8:9], s[2:3]
	s_delay_alu instid0(SALU_CYCLE_1) | instskip(SKIP_3) | instid1(VALU_DEP_1)
	v_cvt_f32_u32_e32 v1, s2
	v_cvt_f32_u32_e32 v2, s3
	s_sub_u32 s10, 0, s2
	s_subb_u32 s11, 0, s3
	v_fmamk_f32 v1, v2, 0x4f800000, v1
	s_delay_alu instid0(VALU_DEP_1) | instskip(SKIP_2) | instid1(VALU_DEP_1)
	v_rcp_f32_e32 v1, v1
	s_waitcnt_depctr 0xfff
	v_mul_f32_e32 v1, 0x5f7ffffc, v1
	v_mul_f32_e32 v2, 0x2f800000, v1
	s_delay_alu instid0(VALU_DEP_1) | instskip(NEXT) | instid1(VALU_DEP_1)
	v_trunc_f32_e32 v2, v2
	v_fmamk_f32 v1, v2, 0xcf800000, v1
	v_cvt_u32_f32_e32 v2, v2
	s_delay_alu instid0(VALU_DEP_2) | instskip(NEXT) | instid1(VALU_DEP_2)
	v_cvt_u32_f32_e32 v1, v1
	v_readfirstlane_b32 s8, v2
	s_delay_alu instid0(VALU_DEP_2) | instskip(NEXT) | instid1(VALU_DEP_2)
	v_readfirstlane_b32 s9, v1
	s_mul_i32 s12, s10, s8
	s_delay_alu instid0(VALU_DEP_1)
	s_mul_hi_u32 s16, s10, s9
	s_mul_i32 s14, s11, s9
	s_add_i32 s12, s16, s12
	s_mul_i32 s17, s10, s9
	s_add_i32 s12, s12, s14
	s_mul_hi_u32 s16, s9, s17
	s_mul_hi_u32 s27, s8, s17
	s_mul_i32 s14, s8, s17
	s_mul_hi_u32 s17, s9, s12
	s_mul_i32 s9, s9, s12
	s_mul_hi_u32 s28, s8, s12
	s_add_u32 s9, s16, s9
	s_addc_u32 s16, 0, s17
	s_add_u32 s9, s9, s14
	s_mul_i32 s12, s8, s12
	s_addc_u32 s9, s16, s27
	s_addc_u32 s14, s28, 0
	s_add_u32 s9, s9, s12
	s_addc_u32 s12, 0, s14
	v_add_co_u32 v1, s9, v1, s9
	s_delay_alu instid0(VALU_DEP_1) | instskip(SKIP_1) | instid1(VALU_DEP_1)
	s_cmp_lg_u32 s9, 0
	s_addc_u32 s8, s8, s12
	v_readfirstlane_b32 s9, v1
	s_mul_i32 s12, s10, s8
	s_delay_alu instid0(VALU_DEP_1)
	s_mul_hi_u32 s14, s10, s9
	s_mul_i32 s11, s11, s9
	s_add_i32 s12, s14, s12
	s_mul_i32 s10, s10, s9
	s_add_i32 s12, s12, s11
	s_mul_hi_u32 s14, s8, s10
	s_mul_i32 s16, s8, s10
	s_mul_hi_u32 s10, s9, s10
	s_mul_hi_u32 s17, s9, s12
	s_mul_i32 s9, s9, s12
	s_mul_hi_u32 s11, s8, s12
	s_add_u32 s9, s10, s9
	s_addc_u32 s10, 0, s17
	s_add_u32 s9, s9, s16
	s_mul_i32 s12, s8, s12
	s_addc_u32 s9, s10, s14
	s_addc_u32 s10, s11, 0
	s_add_u32 s9, s9, s12
	s_addc_u32 s10, 0, s10
	v_add_co_u32 v1, s9, v1, s9
	s_delay_alu instid0(VALU_DEP_1) | instskip(SKIP_1) | instid1(VALU_DEP_1)
	s_cmp_lg_u32 s9, 0
	s_addc_u32 s8, s8, s10
	v_readfirstlane_b32 s9, v1
	s_mul_i32 s10, s18, s8
	s_mul_hi_u32 s8, s18, s8
	s_delay_alu instid0(VALU_DEP_1) | instskip(NEXT) | instid1(SALU_CYCLE_1)
	s_mul_hi_u32 s9, s18, s9
	s_add_u32 s9, s9, s10
	s_addc_u32 s8, 0, s8
	s_add_u32 s9, s9, 0
	s_addc_u32 s8, s8, 0
	s_addc_u32 s9, 0, 0
	s_add_u32 s8, s8, 0
	s_addc_u32 s9, 0, s9
	s_mul_hi_u32 s10, s2, s8
	s_mul_i32 s9, s2, s9
	s_mul_i32 s11, s3, s8
	;; [unrolled: 1-line block ×3, first 2 shown]
	s_add_i32 s9, s10, s9
	v_sub_co_u32 v1, s8, s18, s8
	s_add_i32 s9, s9, s11
	s_delay_alu instid0(SALU_CYCLE_1) | instskip(SKIP_1) | instid1(VALU_DEP_1)
	s_sub_i32 s10, 0, s9
	s_cmp_lg_u32 s8, 0
	v_sub_co_u32 v2, s11, v1, s2
	s_subb_u32 s10, s10, s3
	s_cmp_lg_u32 s11, 0
	s_subb_u32 s12, s10, 0
	s_delay_alu instid0(VALU_DEP_1)
	v_cmp_le_u32_e32 vcc_lo, s2, v2
	s_cmp_ge_u32 s12, s3
	s_cselect_b32 s14, -1, 0
	s_cmp_eq_u32 s12, s3
	v_cndmask_b32_e64 v3, 0, -1, vcc_lo
	s_cselect_b32 vcc_lo, -1, 0
	s_cmp_lg_u32 s11, 0
	v_sub_co_u32 v4, s11, v2, s2
	s_subb_u32 s10, s10, s3
	s_cmp_lg_u32 s11, 0
	v_cndmask_b32_e32 v3, s14, v3, vcc_lo
	s_subb_u32 s10, s10, 0
	s_cmp_lg_u32 s8, 0
	v_cmp_le_u32_e32 vcc_lo, s2, v1
	s_subb_u32 s8, 0, s9
	s_delay_alu instid0(SALU_CYCLE_1)
	s_cmp_ge_u32 s8, s3
	v_cndmask_b32_e64 v5, 0, -1, vcc_lo
	s_cselect_b32 s9, -1, 0
	s_cmp_eq_u32 s8, s3
	v_cmp_ne_u32_e32 vcc_lo, 0, v3
	v_mov_b32_e32 v3, s10
	s_cselect_b32 s2, -1, 0
	s_delay_alu instid0(SALU_CYCLE_1) | instskip(SKIP_1) | instid1(VALU_DEP_3)
	v_cndmask_b32_e64 v5, s9, v5, s2
	v_cndmask_b32_e32 v2, v2, v4, vcc_lo
	v_cndmask_b32_e32 v3, s12, v3, vcc_lo
	s_mov_b32 s2, s19
	s_delay_alu instid0(VALU_DEP_3) | instskip(NEXT) | instid1(VALU_DEP_3)
	v_cmp_ne_u32_e32 vcc_lo, 0, v5
	v_cndmask_b32_e32 v1, v1, v2, vcc_lo
	s_delay_alu instid0(VALU_DEP_3) | instskip(NEXT) | instid1(VALU_DEP_2)
	v_cndmask_b32_e32 v3, s8, v3, vcc_lo
	v_sub_co_u32 v1, vcc_lo, v1, 0
	s_delay_alu instid0(VALU_DEP_2)
	v_subrev_co_ci_u32_e32 v2, vcc_lo, 0, v3, vcc_lo
	s_and_not1_b32 vcc_lo, exec_lo, s2
	s_cbranch_vccnz .LBB12_3
.LBB12_2:
	v_cvt_f32_u32_e32 v1, s26
	s_sub_i32 s3, 0, s26
	s_delay_alu instid0(VALU_DEP_1) | instskip(SKIP_2) | instid1(VALU_DEP_1)
	v_rcp_iflag_f32_e32 v1, v1
	s_waitcnt_depctr 0xfff
	v_mul_f32_e32 v1, 0x4f7ffffe, v1
	v_cvt_u32_f32_e32 v1, v1
	s_delay_alu instid0(VALU_DEP_1) | instskip(NEXT) | instid1(VALU_DEP_1)
	v_readfirstlane_b32 s2, v1
	s_mul_i32 s3, s3, s2
	s_delay_alu instid0(SALU_CYCLE_1) | instskip(NEXT) | instid1(SALU_CYCLE_1)
	s_mul_hi_u32 s3, s2, s3
	s_add_i32 s2, s2, s3
	s_delay_alu instid0(SALU_CYCLE_1) | instskip(NEXT) | instid1(SALU_CYCLE_1)
	s_mul_hi_u32 s2, s18, s2
	s_mul_i32 s2, s2, s26
	s_delay_alu instid0(SALU_CYCLE_1) | instskip(NEXT) | instid1(SALU_CYCLE_1)
	s_sub_i32 s2, s18, s2
	s_sub_i32 s3, s2, s26
	s_cmp_ge_u32 s2, s26
	s_cselect_b32 s2, s3, s2
	s_mov_b32 s3, 0
	s_sub_i32 s8, s2, s26
	s_cmp_ge_u32 s2, s26
	s_cselect_b32 s2, s8, s2
	s_delay_alu instid0(SALU_CYCLE_1)
	v_dual_mov_b32 v1, s2 :: v_dual_mov_b32 v2, s3
.LBB12_3:
	s_load_b64 s[8:9], s[0:1], 0x90
	s_mov_b32 s10, 0
	s_mov_b32 s11, s5
	s_delay_alu instid0(SALU_CYCLE_1)
	s_cmp_lg_u64 s[10:11], 0
	s_cbranch_scc0 .LBB12_11
; %bb.4:
	s_ashr_i32 s2, s5, 31
	s_delay_alu instid0(SALU_CYCLE_1) | instskip(SKIP_2) | instid1(SALU_CYCLE_1)
	s_add_u32 s16, s4, s2
	s_mov_b32 s3, s2
	s_addc_u32 s17, s5, s2
	s_xor_b64 s[2:3], s[16:17], s[2:3]
	s_delay_alu instid0(SALU_CYCLE_1) | instskip(SKIP_3) | instid1(VALU_DEP_1)
	v_cvt_f32_u32_e32 v3, s2
	v_cvt_f32_u32_e32 v4, s3
	s_sub_u32 s12, 0, s2
	s_subb_u32 s14, 0, s3
	v_fmamk_f32 v3, v4, 0x4f800000, v3
	s_delay_alu instid0(VALU_DEP_1) | instskip(SKIP_2) | instid1(VALU_DEP_1)
	v_rcp_f32_e32 v3, v3
	s_waitcnt_depctr 0xfff
	v_mul_f32_e32 v3, 0x5f7ffffc, v3
	v_mul_f32_e32 v4, 0x2f800000, v3
	s_delay_alu instid0(VALU_DEP_1) | instskip(NEXT) | instid1(VALU_DEP_1)
	v_trunc_f32_e32 v4, v4
	v_fmamk_f32 v3, v4, 0xcf800000, v3
	v_cvt_u32_f32_e32 v4, v4
	s_delay_alu instid0(VALU_DEP_2) | instskip(NEXT) | instid1(VALU_DEP_2)
	v_cvt_u32_f32_e32 v3, v3
	v_readfirstlane_b32 s5, v4
	s_delay_alu instid0(VALU_DEP_2) | instskip(NEXT) | instid1(VALU_DEP_2)
	v_readfirstlane_b32 s11, v3
	s_mul_i32 s16, s12, s5
	s_delay_alu instid0(VALU_DEP_1)
	s_mul_hi_u32 s26, s12, s11
	s_mul_i32 s17, s14, s11
	s_add_i32 s16, s26, s16
	s_mul_i32 s27, s12, s11
	s_add_i32 s16, s16, s17
	s_mul_hi_u32 s26, s11, s27
	s_mul_hi_u32 s28, s5, s27
	s_mul_i32 s17, s5, s27
	s_mul_hi_u32 s27, s11, s16
	s_mul_i32 s11, s11, s16
	s_mul_hi_u32 s29, s5, s16
	s_add_u32 s11, s26, s11
	s_addc_u32 s26, 0, s27
	s_add_u32 s11, s11, s17
	s_mul_i32 s16, s5, s16
	s_addc_u32 s11, s26, s28
	s_addc_u32 s17, s29, 0
	s_add_u32 s11, s11, s16
	s_addc_u32 s16, 0, s17
	v_add_co_u32 v3, s11, v3, s11
	s_delay_alu instid0(VALU_DEP_1) | instskip(SKIP_1) | instid1(VALU_DEP_1)
	s_cmp_lg_u32 s11, 0
	s_addc_u32 s5, s5, s16
	v_readfirstlane_b32 s11, v3
	s_mul_i32 s16, s12, s5
	s_delay_alu instid0(VALU_DEP_1)
	s_mul_hi_u32 s17, s12, s11
	s_mul_i32 s14, s14, s11
	s_add_i32 s16, s17, s16
	s_mul_i32 s12, s12, s11
	s_add_i32 s16, s16, s14
	s_mul_hi_u32 s17, s5, s12
	s_mul_i32 s26, s5, s12
	s_mul_hi_u32 s12, s11, s12
	s_mul_hi_u32 s27, s11, s16
	s_mul_i32 s11, s11, s16
	s_mul_hi_u32 s14, s5, s16
	s_add_u32 s11, s12, s11
	s_addc_u32 s12, 0, s27
	s_add_u32 s11, s11, s26
	s_mul_i32 s16, s5, s16
	s_addc_u32 s11, s12, s17
	s_addc_u32 s12, s14, 0
	s_add_u32 s11, s11, s16
	s_addc_u32 s12, 0, s12
	v_add_co_u32 v3, s11, v3, s11
	s_delay_alu instid0(VALU_DEP_1) | instskip(SKIP_1) | instid1(VALU_DEP_1)
	s_cmp_lg_u32 s11, 0
	s_addc_u32 s5, s5, s12
	v_readfirstlane_b32 s11, v3
	s_mul_i32 s12, s15, s5
	s_mul_hi_u32 s5, s15, s5
	s_delay_alu instid0(VALU_DEP_1) | instskip(NEXT) | instid1(SALU_CYCLE_1)
	s_mul_hi_u32 s11, s15, s11
	s_add_u32 s11, s11, s12
	s_addc_u32 s5, 0, s5
	s_add_u32 s11, s11, 0
	s_addc_u32 s5, s5, 0
	s_addc_u32 s11, 0, 0
	s_add_u32 s5, s5, 0
	s_addc_u32 s11, 0, s11
	s_mul_hi_u32 s12, s2, s5
	s_mul_i32 s11, s2, s11
	s_mul_i32 s14, s3, s5
	;; [unrolled: 1-line block ×3, first 2 shown]
	s_add_i32 s11, s12, s11
	v_sub_co_u32 v3, s5, s15, s5
	s_add_i32 s11, s11, s14
	s_delay_alu instid0(SALU_CYCLE_1) | instskip(SKIP_1) | instid1(VALU_DEP_1)
	s_sub_i32 s12, 0, s11
	s_cmp_lg_u32 s5, 0
	v_sub_co_u32 v4, s14, v3, s2
	s_subb_u32 s12, s12, s3
	s_cmp_lg_u32 s14, 0
	s_subb_u32 s16, s12, 0
	s_delay_alu instid0(VALU_DEP_1)
	v_cmp_le_u32_e32 vcc_lo, s2, v4
	s_cmp_ge_u32 s16, s3
	s_cselect_b32 s17, -1, 0
	s_cmp_eq_u32 s16, s3
	v_cndmask_b32_e64 v5, 0, -1, vcc_lo
	s_cselect_b32 vcc_lo, -1, 0
	s_cmp_lg_u32 s14, 0
	v_sub_co_u32 v6, s14, v4, s2
	s_subb_u32 s12, s12, s3
	s_cmp_lg_u32 s14, 0
	v_cndmask_b32_e32 v5, s17, v5, vcc_lo
	s_subb_u32 s12, s12, 0
	s_cmp_lg_u32 s5, 0
	v_cmp_le_u32_e32 vcc_lo, s2, v3
	s_subb_u32 s5, 0, s11
	s_delay_alu instid0(SALU_CYCLE_1)
	s_cmp_ge_u32 s5, s3
	v_cndmask_b32_e64 v7, 0, -1, vcc_lo
	s_cselect_b32 s11, -1, 0
	s_cmp_eq_u32 s5, s3
	v_cmp_ne_u32_e32 vcc_lo, 0, v5
	v_mov_b32_e32 v5, s12
	s_cselect_b32 s2, -1, 0
	s_delay_alu instid0(SALU_CYCLE_1) | instskip(SKIP_1) | instid1(VALU_DEP_3)
	v_cndmask_b32_e64 v7, s11, v7, s2
	v_cndmask_b32_e32 v4, v4, v6, vcc_lo
	v_cndmask_b32_e32 v5, s16, v5, vcc_lo
	s_delay_alu instid0(VALU_DEP_3) | instskip(NEXT) | instid1(VALU_DEP_3)
	v_cmp_ne_u32_e32 vcc_lo, 0, v7
	v_cndmask_b32_e32 v3, v3, v4, vcc_lo
	s_delay_alu instid0(VALU_DEP_3) | instskip(NEXT) | instid1(VALU_DEP_2)
	v_cndmask_b32_e32 v5, s5, v5, vcc_lo
	v_sub_co_u32 v3, vcc_lo, v3, 0
	s_delay_alu instid0(VALU_DEP_2)
	v_subrev_co_ci_u32_e32 v4, vcc_lo, 0, v5, vcc_lo
	s_and_not1_b32 vcc_lo, exec_lo, s10
	s_cbranch_vccnz .LBB12_6
.LBB12_5:
	v_cvt_f32_u32_e32 v3, s4
	s_sub_i32 s3, 0, s4
	s_delay_alu instid0(VALU_DEP_1) | instskip(SKIP_2) | instid1(VALU_DEP_1)
	v_rcp_iflag_f32_e32 v3, v3
	s_waitcnt_depctr 0xfff
	v_mul_f32_e32 v3, 0x4f7ffffe, v3
	v_cvt_u32_f32_e32 v3, v3
	s_delay_alu instid0(VALU_DEP_1) | instskip(NEXT) | instid1(VALU_DEP_1)
	v_readfirstlane_b32 s2, v3
	s_mul_i32 s3, s3, s2
	s_delay_alu instid0(SALU_CYCLE_1) | instskip(NEXT) | instid1(SALU_CYCLE_1)
	s_mul_hi_u32 s3, s2, s3
	s_add_i32 s2, s2, s3
	s_delay_alu instid0(SALU_CYCLE_1) | instskip(NEXT) | instid1(SALU_CYCLE_1)
	s_mul_hi_u32 s2, s15, s2
	s_mul_i32 s2, s2, s4
	s_delay_alu instid0(SALU_CYCLE_1) | instskip(NEXT) | instid1(SALU_CYCLE_1)
	s_sub_i32 s2, s15, s2
	s_sub_i32 s3, s2, s4
	s_cmp_ge_u32 s2, s4
	s_cselect_b32 s2, s3, s2
	s_mov_b32 s3, 0
	s_sub_i32 s5, s2, s4
	s_cmp_ge_u32 s2, s4
	s_cselect_b32 s2, s5, s2
	s_delay_alu instid0(SALU_CYCLE_1)
	v_dual_mov_b32 v4, s3 :: v_dual_mov_b32 v3, s2
.LBB12_6:
	s_clause 0x1
	s_load_b64 s[26:27], s[0:1], 0x30
	s_load_b64 s[10:11], s[0:1], 0xa0
	s_waitcnt lgkmcnt(0)
	v_cmp_le_f32_e64 s2, s9, 0
	v_mov_b32_e32 v5, 1.0
	s_delay_alu instid0(VALU_DEP_2)
	s_and_b32 vcc_lo, exec_lo, s2
	s_cbranch_vccnz .LBB12_8
; %bb.7:
	s_clause 0x1
	s_load_b32 s4, s[0:1], 0x28
	s_load_b64 s[2:3], s[0:1], 0x98
	s_add_i32 s9, s18, 1
	s_waitcnt lgkmcnt(0)
	s_sub_i32 s5, s18, s4
	v_mov_b32_e32 v5, s2
	s_lshl_b32 s5, s5, 1
	s_delay_alu instid0(SALU_CYCLE_1)
	s_or_b32 s2, s5, 1
	s_cmp_lt_u32 s18, s4
	s_cselect_b32 vcc_lo, -1, 0
	v_cndmask_b32_e32 v7, s3, v5, vcc_lo
	s_and_b32 s3, vcc_lo, exec_lo
	s_cselect_b32 s2, s9, s2
	s_mov_b32 s3, 0x3e76c4e1
	v_cvt_f32_i32_e32 v5, s2
	v_cmp_neq_f32_e32 vcc_lo, 1.0, v7
	s_delay_alu instid0(VALU_DEP_2) | instskip(NEXT) | instid1(VALU_DEP_1)
	v_cndmask_b32_e32 v8, 1.0, v5, vcc_lo
	v_cmp_eq_f32_e32 vcc_lo, 0, v8
	v_cndmask_b32_e64 v9, |v7|, 1.0, vcc_lo
	s_delay_alu instid0(VALU_DEP_1) | instskip(NEXT) | instid1(VALU_DEP_1)
	v_frexp_mant_f32_e32 v5, v9
	v_cmp_gt_f32_e64 s2, 0x3f2aaaab, v5
	s_delay_alu instid0(VALU_DEP_1) | instskip(NEXT) | instid1(VALU_DEP_1)
	v_cndmask_b32_e64 v6, 1.0, 2.0, s2
	v_mul_f32_e32 v5, v5, v6
	s_delay_alu instid0(VALU_DEP_1) | instskip(SKIP_1) | instid1(VALU_DEP_2)
	v_add_f32_e32 v6, 1.0, v5
	v_add_f32_e32 v11, -1.0, v5
	v_rcp_f32_e32 v10, v6
	s_waitcnt_depctr 0xfff
	v_mul_f32_e32 v12, v11, v10
	s_delay_alu instid0(VALU_DEP_1) | instskip(NEXT) | instid1(VALU_DEP_1)
	v_dual_add_f32 v13, -1.0, v6 :: v_dual_mul_f32 v14, v6, v12
	v_sub_f32_e32 v5, v5, v13
	v_cndmask_b32_e64 v7, v7, 1.0, vcc_lo
	s_delay_alu instid0(VALU_DEP_3) | instskip(NEXT) | instid1(VALU_DEP_2)
	v_fma_f32 v6, v12, v6, -v14
	v_cmp_eq_f32_e64 s4, 0, v7
	s_delay_alu instid0(VALU_DEP_2) | instskip(NEXT) | instid1(VALU_DEP_1)
	v_fmac_f32_e32 v6, v12, v5
	v_add_f32_e32 v5, v14, v6
	s_delay_alu instid0(VALU_DEP_1) | instskip(NEXT) | instid1(VALU_DEP_1)
	v_dual_sub_f32 v14, v5, v14 :: v_dual_sub_f32 v13, v11, v5
	v_dual_sub_f32 v6, v14, v6 :: v_dual_sub_f32 v11, v11, v13
	s_delay_alu instid0(VALU_DEP_1) | instskip(NEXT) | instid1(VALU_DEP_1)
	v_sub_f32_e32 v5, v11, v5
	v_add_f32_e32 v5, v6, v5
	s_delay_alu instid0(VALU_DEP_1) | instskip(NEXT) | instid1(VALU_DEP_1)
	v_add_f32_e32 v5, v13, v5
	v_mul_f32_e32 v5, v10, v5
	s_delay_alu instid0(VALU_DEP_1) | instskip(NEXT) | instid1(VALU_DEP_1)
	v_add_f32_e32 v10, v12, v5
	v_sub_f32_e32 v6, v10, v12
	v_mul_f32_e32 v11, v10, v10
	s_delay_alu instid0(VALU_DEP_2) | instskip(NEXT) | instid1(VALU_DEP_2)
	v_sub_f32_e32 v12, v5, v6
	v_fma_f32 v13, v10, v10, -v11
	s_delay_alu instid0(VALU_DEP_2) | instskip(NEXT) | instid1(VALU_DEP_1)
	v_add_f32_e32 v5, v12, v12
	v_fmac_f32_e32 v13, v10, v5
	v_cvt_f64_f32_e32 v[5:6], v9
	s_delay_alu instid0(VALU_DEP_2) | instskip(NEXT) | instid1(VALU_DEP_1)
	v_add_f32_e32 v14, v11, v13
	v_fmaak_f32 v15, s3, v14, 0x3e91f4c4
	v_sub_f32_e32 v11, v14, v11
	v_mul_f32_e32 v18, v10, v14
	s_delay_alu instid0(VALU_DEP_3) | instskip(NEXT) | instid1(VALU_DEP_3)
	v_fmaak_f32 v15, v14, v15, 0x3ecccdef
	v_sub_f32_e32 v11, v13, v11
	s_delay_alu instid0(VALU_DEP_2) | instskip(NEXT) | instid1(VALU_DEP_1)
	v_mul_f32_e32 v16, v14, v15
	v_fma_f32 v13, v14, v15, -v16
	s_delay_alu instid0(VALU_DEP_1) | instskip(NEXT) | instid1(VALU_DEP_1)
	v_fmac_f32_e32 v13, v11, v15
	v_add_f32_e32 v15, v16, v13
	v_frexp_exp_i32_f64_e32 v5, v[5:6]
	s_delay_alu instid0(VALU_DEP_2) | instskip(NEXT) | instid1(VALU_DEP_1)
	v_sub_f32_e32 v16, v15, v16
	v_sub_f32_e32 v6, v13, v16
	v_fma_f32 v16, v14, v10, -v18
	s_delay_alu instid0(VALU_DEP_2) | instskip(NEXT) | instid1(VALU_DEP_2)
	v_add_f32_e32 v6, 0x31739010, v6
	v_dual_add_f32 v17, 0x3f2aaaaa, v15 :: v_dual_fmac_f32 v16, v14, v12
	v_ldexp_f32 v12, v12, 1
	s_delay_alu instid0(VALU_DEP_2) | instskip(NEXT) | instid1(VALU_DEP_1)
	v_dual_add_f32 v13, 0xbf2aaaaa, v17 :: v_dual_fmac_f32 v16, v11, v10
	v_sub_f32_e32 v13, v15, v13
	s_delay_alu instid0(VALU_DEP_1) | instskip(NEXT) | instid1(VALU_DEP_3)
	v_add_f32_e32 v6, v6, v13
	v_add_f32_e32 v13, v18, v16
	s_delay_alu instid0(VALU_DEP_2) | instskip(NEXT) | instid1(VALU_DEP_1)
	v_add_f32_e32 v11, v17, v6
	v_sub_f32_e32 v14, v17, v11
	s_delay_alu instid0(VALU_DEP_3) | instskip(SKIP_2) | instid1(VALU_DEP_4)
	v_mul_f32_e32 v15, v13, v11
	v_sub_f32_e32 v17, v13, v18
	v_subrev_co_ci_u32_e64 v5, s2, 0, v5, s2
	v_add_f32_e32 v6, v6, v14
	s_delay_alu instid0(VALU_DEP_4) | instskip(NEXT) | instid1(VALU_DEP_4)
	v_fma_f32 v14, v13, v11, -v15
	v_sub_f32_e32 v16, v16, v17
	s_delay_alu instid0(VALU_DEP_4) | instskip(NEXT) | instid1(VALU_DEP_3)
	v_cvt_f32_i32_e32 v5, v5
	v_fmac_f32_e32 v14, v13, v6
	v_ldexp_f32 v6, v10, 1
	s_delay_alu instid0(VALU_DEP_2) | instskip(NEXT) | instid1(VALU_DEP_1)
	v_fmac_f32_e32 v14, v16, v11
	v_add_f32_e32 v10, v15, v14
	s_delay_alu instid0(VALU_DEP_1) | instskip(NEXT) | instid1(VALU_DEP_1)
	v_add_f32_e32 v11, v6, v10
	v_dual_sub_f32 v6, v11, v6 :: v_dual_sub_f32 v13, v10, v15
	s_delay_alu instid0(VALU_DEP_1) | instskip(NEXT) | instid1(VALU_DEP_2)
	v_sub_f32_e32 v6, v10, v6
	v_sub_f32_e32 v13, v14, v13
	s_delay_alu instid0(VALU_DEP_1) | instskip(NEXT) | instid1(VALU_DEP_1)
	v_add_f32_e32 v10, v12, v13
	v_dual_mul_f32 v15, 0x3f317218, v5 :: v_dual_add_f32 v6, v10, v6
	s_delay_alu instid0(VALU_DEP_1) | instskip(NEXT) | instid1(VALU_DEP_2)
	v_fma_f32 v14, 0x3f317218, v5, -v15
	v_add_f32_e32 v12, v11, v6
	s_delay_alu instid0(VALU_DEP_1) | instskip(NEXT) | instid1(VALU_DEP_1)
	v_sub_f32_e32 v11, v12, v11
	v_dual_fmamk_f32 v5, v5, 0xb102e308, v14 :: v_dual_sub_f32 v6, v6, v11
	s_delay_alu instid0(VALU_DEP_1) | instskip(NEXT) | instid1(VALU_DEP_1)
	v_add_f32_e32 v10, v15, v5
	v_add_f32_e32 v13, v10, v12
	s_delay_alu instid0(VALU_DEP_1) | instskip(NEXT) | instid1(VALU_DEP_1)
	v_dual_sub_f32 v15, v10, v15 :: v_dual_sub_f32 v14, v13, v10
	v_sub_f32_e32 v16, v13, v14
	s_delay_alu instid0(VALU_DEP_2) | instskip(NEXT) | instid1(VALU_DEP_2)
	v_sub_f32_e32 v5, v5, v15
	v_dual_sub_f32 v11, v12, v14 :: v_dual_sub_f32 v10, v10, v16
	s_delay_alu instid0(VALU_DEP_2) | instskip(NEXT) | instid1(VALU_DEP_2)
	v_add_f32_e32 v12, v5, v6
	v_add_f32_e32 v10, v11, v10
	s_delay_alu instid0(VALU_DEP_1) | instskip(NEXT) | instid1(VALU_DEP_1)
	v_add_f32_e32 v10, v12, v10
	v_dual_sub_f32 v11, v12, v5 :: v_dual_add_f32 v14, v13, v10
	s_delay_alu instid0(VALU_DEP_1) | instskip(SKIP_1) | instid1(VALU_DEP_3)
	v_sub_f32_e32 v12, v12, v11
	v_sub_f32_e32 v6, v6, v11
	;; [unrolled: 1-line block ×3, first 2 shown]
	s_delay_alu instid0(VALU_DEP_3) | instskip(NEXT) | instid1(VALU_DEP_1)
	v_sub_f32_e32 v5, v5, v12
	v_add_f32_e32 v5, v6, v5
	s_delay_alu instid0(VALU_DEP_3) | instskip(NEXT) | instid1(VALU_DEP_1)
	v_sub_f32_e32 v6, v10, v11
	v_add_f32_e32 v5, v5, v6
	s_delay_alu instid0(VALU_DEP_1) | instskip(NEXT) | instid1(VALU_DEP_1)
	v_add_f32_e32 v6, v14, v5
	v_mul_f32_e32 v11, v8, v6
	v_sub_f32_e32 v10, v6, v14
	s_delay_alu instid0(VALU_DEP_2) | instskip(NEXT) | instid1(VALU_DEP_2)
	v_fma_f32 v6, v8, v6, -v11
	v_sub_f32_e32 v5, v5, v10
	v_cmp_class_f32_e64 s2, v11, 0x204
	s_delay_alu instid0(VALU_DEP_2) | instskip(NEXT) | instid1(VALU_DEP_1)
	v_fmac_f32_e32 v6, v8, v5
	v_add_f32_e32 v5, v11, v6
	s_delay_alu instid0(VALU_DEP_1) | instskip(NEXT) | instid1(VALU_DEP_1)
	v_cndmask_b32_e64 v10, v5, v11, s2
	v_cmp_eq_f32_e64 s2, 0x42b17218, v10
	s_delay_alu instid0(VALU_DEP_1) | instskip(SKIP_1) | instid1(VALU_DEP_2)
	v_cndmask_b32_e64 v12, 0, 0x37000000, s2
	v_cmp_neq_f32_e64 s2, 0x7f800000, |v10|
	v_sub_f32_e32 v13, v10, v12
	v_trunc_f32_e32 v10, v8
	s_delay_alu instid0(VALU_DEP_2) | instskip(NEXT) | instid1(VALU_DEP_1)
	v_mul_f32_e32 v14, 0x3fb8aa3b, v13
	v_fma_f32 v15, 0x3fb8aa3b, v13, -v14
	v_rndne_f32_e32 v16, v14
	s_delay_alu instid0(VALU_DEP_1) | instskip(NEXT) | instid1(VALU_DEP_1)
	v_dual_fmamk_f32 v15, v13, 0x32a5705f, v15 :: v_dual_sub_f32 v14, v14, v16
	v_add_f32_e32 v14, v14, v15
	v_sub_f32_e32 v5, v5, v11
	v_cvt_i32_f32_e32 v11, v16
	s_delay_alu instid0(VALU_DEP_3) | instskip(NEXT) | instid1(VALU_DEP_2)
	v_exp_f32_e32 v14, v14
	v_sub_f32_e32 v5, v6, v5
	s_delay_alu instid0(VALU_DEP_1)
	v_cndmask_b32_e64 v5, 0, v5, s2
	v_cmp_ngt_f32_e64 s2, 0xc2ce8ed0, v13
	s_waitcnt_depctr 0xfff
	v_ldexp_f32 v6, v14, v11
	v_mul_f32_e32 v11, 0.5, v8
	v_add_f32_e32 v5, v12, v5
	s_delay_alu instid0(VALU_DEP_3) | instskip(NEXT) | instid1(VALU_DEP_3)
	v_cndmask_b32_e64 v6, 0, v6, s2
	v_trunc_f32_e32 v14, v11
	v_cmp_nlt_f32_e64 s2, 0x42b17218, v13
	s_delay_alu instid0(VALU_DEP_2) | instskip(NEXT) | instid1(VALU_DEP_2)
	v_cmp_neq_f32_e64 s3, v14, v11
	v_cndmask_b32_e64 v6, 0x7f800000, v6, s2
	v_cmp_eq_f32_e64 s2, v10, v8
	s_delay_alu instid0(VALU_DEP_2) | instskip(NEXT) | instid1(VALU_DEP_2)
	v_fma_f32 v5, v6, v5, v6
	s_and_b32 vcc_lo, s2, s3
	v_cmp_class_f32_e64 s3, v6, 0x204
	v_cndmask_b32_e32 v10, 1.0, v7, vcc_lo
	s_delay_alu instid0(VALU_DEP_2) | instskip(SKIP_1) | instid1(VALU_DEP_2)
	v_cndmask_b32_e64 v5, v5, v6, s3
	v_cmp_gt_f32_e64 s3, 0, v8
	v_bfi_b32 v5, 0x7fffffff, v5, v10
	v_cndmask_b32_e32 v10, 0, v7, vcc_lo
	s_delay_alu instid0(VALU_DEP_3)
	s_xor_b32 s3, s3, s4
	v_cmp_eq_f32_e32 vcc_lo, 0x7f800000, v9
	v_cndmask_b32_e64 v6, 0x7f800000, 0, s3
	v_cndmask_b32_e64 v8, 0x7fc00000, v5, s2
	v_cmp_gt_f32_e64 s2, 0, v7
	s_or_b32 vcc_lo, vcc_lo, s4
	s_delay_alu instid0(VALU_DEP_3) | instskip(NEXT) | instid1(VALU_DEP_2)
	v_bfi_b32 v6, 0x7fffffff, v6, v10
	v_cndmask_b32_e64 v5, v5, v8, s2
	s_delay_alu instid0(VALU_DEP_1) | instskip(SKIP_1) | instid1(VALU_DEP_2)
	v_cndmask_b32_e32 v5, v5, v6, vcc_lo
	v_cmp_o_f32_e32 vcc_lo, v7, v7
	v_cndmask_b32_e32 v5, 0x7fc00000, v5, vcc_lo
.LBB12_8:
	s_load_b256 s[36:43], s[0:1], 0x0
	s_load_b32 s2, s[6:7], 0xc
	s_waitcnt lgkmcnt(0)
	s_cmp_lg_u64 s[40:41], 0
	s_cselect_b32 s34, -1, 0
	s_cmp_eq_u64 s[40:41], 0
	s_cbranch_scc1 .LBB12_12
; %bb.9:
	s_lshl_b64 s[4:5], s[18:19], 2
	s_delay_alu instid0(SALU_CYCLE_1)
	s_add_u32 s4, s40, s4
	s_addc_u32 s5, s41, s5
	s_load_b32 s3, s[4:5], 0x0
	s_branch .LBB12_13
.LBB12_10:
                                        ; implicit-def: $vgpr1_vgpr2
	s_branch .LBB12_2
.LBB12_11:
                                        ; implicit-def: $vgpr3_vgpr4
	s_branch .LBB12_5
.LBB12_12:
	s_mov_b32 s3, 0xff800000
.LBB12_13:
	s_mul_i32 s4, s11, s15
	s_bfe_i64 s[28:29], s[26:27], 0x200000
	s_add_i32 s4, s4, s18
	s_and_b32 s17, 0xffff, s2
	s_mul_i32 s27, s4, s10
	s_waitcnt lgkmcnt(0)
	v_mov_b32_e32 v6, s3
	s_add_i32 s27, s27, s13
	s_cmp_gt_i32 s26, 0
	s_mov_b32 s4, 0
	s_cselect_b32 s29, -1, 0
	s_cmp_lt_i32 s26, 1
	s_cbranch_scc1 .LBB12_21
; %bb.14:
	v_mul_lo_u32 v6, v1, s23
	v_mul_hi_u32 v7, v1, s22
	v_mul_lo_u32 v8, v3, s25
	v_mul_hi_u32 v9, v3, s24
	v_mul_lo_u32 v2, v2, s22
	v_mul_lo_u32 v1, v1, s22
	;; [unrolled: 1-line block ×4, first 2 shown]
	s_mul_i32 s2, s21, s13
	v_add_nc_u32_e32 v6, v7, v6
	s_mul_hi_u32 s5, s20, s13
	v_add_nc_u32_e32 v7, v9, v8
	s_mul_i32 s6, s20, s13
	s_add_i32 s5, s5, s2
	v_add_nc_u32_e32 v2, v6, v2
	v_add_co_u32 v1, vcc_lo, v1, s6
	v_add_nc_u32_e32 v4, v7, v4
	s_cmp_lg_u64 s[38:39], 0
	s_delay_alu instid0(VALU_DEP_3) | instskip(NEXT) | instid1(VALU_DEP_3)
	v_add_co_ci_u32_e32 v2, vcc_lo, s5, v2, vcc_lo
	v_add_co_u32 v1, vcc_lo, v1, v3
	s_cselect_b32 s2, -1, 0
	s_delay_alu instid0(VALU_DEP_2) | instskip(SKIP_3) | instid1(VALU_DEP_2)
	v_add_co_ci_u32_e32 v2, vcc_lo, v2, v4, vcc_lo
	s_mul_hi_i32 s7, s27, s28
	s_mul_i32 s6, s27, s28
	v_lshlrev_b32_e32 v3, 2, v0
	v_lshrrev_b64 v[1:2], 1, v[1:2]
	v_lshlrev_b32_e32 v4, 1, v0
	s_lshl_b64 s[6:7], s[6:7], 2
	s_lshl_b32 s5, s17, 2
	s_add_u32 s6, s36, s6
	v_add3_u32 v7, v3, 0, 0x80
	v_cndmask_b32_e64 v2, 0, v2, s2
	v_cndmask_b32_e64 v1, 0, v1, s2
	s_addc_u32 s7, s37, s7
	s_delay_alu instid0(VALU_DEP_1) | instskip(NEXT) | instid1(VALU_DEP_1)
	v_lshlrev_b64 v[1:2], 1, v[1:2]
	v_add_co_u32 v6, vcc_lo, s38, v1
	s_delay_alu instid0(VALU_DEP_2) | instskip(SKIP_1) | instid1(VALU_DEP_3)
	v_add_co_ci_u32_e32 v8, vcc_lo, s39, v2, vcc_lo
	v_add_co_u32 v1, s6, s6, v3
	v_add_co_u32 v3, vcc_lo, v6, v4
	v_mov_b32_e32 v6, s3
	v_add_co_ci_u32_e64 v2, null, s7, 0, s6
	v_add_co_ci_u32_e32 v4, vcc_lo, 0, v8, vcc_lo
	s_lshl_b32 s6, s17, 1
	s_mov_b32 s7, 0
	s_set_inst_prefetch_distance 0x1
	s_branch .LBB12_17
	.p2align	6
.LBB12_15:                              ;   in Loop: Header=BB12_17 Depth=1
	s_waitcnt vmcnt(0)
	s_delay_alu instid0(VALU_DEP_1)
	v_dual_fmac_f32 v9, s8, v8 :: v_dual_max_f32 v6, v6, v6
	ds_store_b32 v7, v9
	v_max_f32_e32 v6, v6, v9
.LBB12_16:                              ;   in Loop: Header=BB12_17 Depth=1
	s_or_b32 exec_lo, exec_lo, s9
	s_add_i32 s7, s7, s17
	v_add_co_u32 v1, vcc_lo, v1, s5
	s_cmp_ge_i32 s7, s26
	v_add_co_ci_u32_e32 v2, vcc_lo, 0, v2, vcc_lo
	s_cselect_b32 s9, -1, 0
	s_xor_b32 s3, s3, -1
	v_add_co_u32 v3, vcc_lo, v3, s6
	s_or_b32 s3, s3, s9
	v_add_nc_u32_e32 v7, s5, v7
	v_add_co_ci_u32_e32 v4, vcc_lo, 0, v4, vcc_lo
	s_and_b32 s3, exec_lo, s3
	s_delay_alu instid0(SALU_CYCLE_1) | instskip(NEXT) | instid1(SALU_CYCLE_1)
	s_or_b32 s4, s3, s4
	s_and_not1_b32 exec_lo, exec_lo, s4
	s_cbranch_execz .LBB12_20
.LBB12_17:                              ; =>This Inner Loop Header: Depth=1
	v_add_nc_u32_e32 v8, s7, v0
	s_delay_alu instid0(VALU_DEP_1) | instskip(NEXT) | instid1(VALU_DEP_1)
	v_cmp_gt_i32_e64 s3, s26, v8
	s_and_saveexec_b32 s9, s3
	s_cbranch_execz .LBB12_16
; %bb.18:                               ;   in Loop: Header=BB12_17 Depth=1
	global_load_b32 v8, v[1:2], off
	v_mov_b32_e32 v9, 0
	s_and_not1_b32 vcc_lo, exec_lo, s2
	s_cbranch_vccnz .LBB12_15
; %bb.19:                               ;   in Loop: Header=BB12_17 Depth=1
	global_load_u16 v9, v[3:4], off
	s_waitcnt vmcnt(0)
	v_cvt_f32_f16_e32 v9, v9
	s_delay_alu instid0(VALU_DEP_1)
	v_mul_f32_e32 v9, v5, v9
	s_branch .LBB12_15
.LBB12_20:
	s_set_inst_prefetch_distance 0x2
	s_or_b32 exec_lo, exec_lo, s4
.LBB12_21:
	v_mbcnt_lo_u32_b32 v1, -1, 0
	s_cmp_gt_u32 s17, 32
	s_mov_b32 s22, 0
	s_cselect_b32 s23, -1, 0
	s_cmp_lt_u32 s17, 33
	v_xor_b32_e32 v2, 16, v1
	v_xor_b32_e32 v3, 8, v1
	s_mov_b32 s24, -1
	s_delay_alu instid0(VALU_DEP_2) | instskip(SKIP_1) | instid1(VALU_DEP_3)
	v_cmp_gt_i32_e32 vcc_lo, 32, v2
	v_cndmask_b32_e32 v2, v1, v2, vcc_lo
	v_cmp_gt_i32_e32 vcc_lo, 32, v3
	v_max_f32_e32 v4, v6, v6
	s_delay_alu instid0(VALU_DEP_3) | instskip(SKIP_4) | instid1(VALU_DEP_1)
	v_lshlrev_b32_e32 v41, 2, v2
	v_cndmask_b32_e32 v3, v1, v3, vcc_lo
	ds_bpermute_b32 v2, v41, v6
	s_waitcnt lgkmcnt(0)
	v_max_f32_e32 v2, v2, v2
	v_max_f32_e32 v2, v4, v2
	v_xor_b32_e32 v4, 4, v1
	s_delay_alu instid0(VALU_DEP_1) | instskip(SKIP_1) | instid1(VALU_DEP_1)
	v_cmp_gt_i32_e32 vcc_lo, 32, v4
	v_cndmask_b32_e32 v4, v1, v4, vcc_lo
	v_lshlrev_b32_e32 v43, 2, v4
	v_xor_b32_e32 v4, 2, v1
	s_delay_alu instid0(VALU_DEP_1) | instskip(SKIP_1) | instid1(VALU_DEP_1)
	v_cmp_gt_i32_e32 vcc_lo, 32, v4
	v_cndmask_b32_e32 v4, v1, v4, vcc_lo
	v_lshlrev_b32_e32 v44, 2, v4
	v_xor_b32_e32 v4, 1, v1
	s_delay_alu instid0(VALU_DEP_1)
	v_cmp_gt_i32_e32 vcc_lo, 32, v4
	v_dual_cndmask_b32 v1, v1, v4 :: v_dual_lshlrev_b32 v42, 2, v3
	ds_bpermute_b32 v3, v42, v2
	v_lshlrev_b32_e32 v45, 2, v1
	s_waitcnt lgkmcnt(0)
	v_max_f32_e32 v3, v3, v3
	s_delay_alu instid0(VALU_DEP_1) | instskip(SKIP_3) | instid1(VALU_DEP_1)
	v_max_f32_e32 v2, v2, v3
	ds_bpermute_b32 v3, v43, v2
	s_waitcnt lgkmcnt(0)
	v_max_f32_e32 v3, v3, v3
	v_max_f32_e32 v2, v2, v3
	ds_bpermute_b32 v3, v44, v2
	s_waitcnt lgkmcnt(0)
	v_max_f32_e32 v3, v3, v3
	s_delay_alu instid0(VALU_DEP_1) | instskip(SKIP_3) | instid1(VALU_DEP_1)
	v_max_f32_e32 v2, v2, v3
	ds_bpermute_b32 v1, v45, v2
	s_waitcnt lgkmcnt(0)
	v_max_f32_e32 v1, v1, v1
	v_max_f32_e32 v46, v2, v1
	s_cbranch_scc1 .LBB12_30
; %bb.22:
	s_cmpk_gt_u32 s17, 0x400
	s_mov_b32 s24, 0
	s_cselect_b32 s2, -1, 0
	s_and_b32 s3, s17, 31
	s_delay_alu instid0(SALU_CYCLE_1) | instskip(SKIP_1) | instid1(SALU_CYCLE_1)
	s_cmp_lg_u32 s3, 0
	s_cselect_b32 s3, -1, 0
	s_or_b32 s3, s2, s3
	s_mov_b32 s2, -1
	s_and_b32 vcc_lo, exec_lo, s3
	s_mov_b32 s3, 0
	s_cbranch_vccz .LBB12_24
; %bb.23:
	s_add_u32 s8, s0, 0xa0
	s_addc_u32 s9, s1, 0
	s_getpc_b64 s[2:3]
	s_add_u32 s2, s2, .str.2@rel32@lo+4
	s_addc_u32 s3, s3, .str.2@rel32@hi+12
	s_getpc_b64 s[4:5]
	s_add_u32 s4, s4, .str.3@rel32@lo+4
	s_addc_u32 s5, s5, .str.3@rel32@hi+12
	s_getpc_b64 s[6:7]
	s_add_u32 s6, s6, __PRETTY_FUNCTION__._ZL12block_reduceIL19block_reduce_method0ELj0EfET1_S1_PS1_@rel32@lo+4
	s_addc_u32 s7, s7, __PRETTY_FUNCTION__._ZL12block_reduceIL19block_reduce_method0ELj0EfET1_S1_PS1_@rel32@hi+12
	v_dual_mov_b32 v47, v0 :: v_dual_mov_b32 v0, s2
	v_dual_mov_b32 v1, s3 :: v_dual_mov_b32 v2, s4
	;; [unrolled: 1-line block ×4, first 2 shown]
	s_getpc_b64 s[10:11]
	s_add_u32 s10, s10, __assert_fail@rel32@lo+4
	s_addc_u32 s11, s11, __assert_fail@rel32@hi+12
	s_mov_b64 s[20:21], s[0:1]
	s_swappc_b64 s[30:31], s[10:11]
	v_mov_b32_e32 v0, v47
	s_mov_b64 s[0:1], s[20:21]
	s_mov_b32 s2, 0
	s_mov_b32 s3, -1
.LBB12_24:
	s_and_not1_b32 vcc_lo, exec_lo, s2
	s_cbranch_vccnz .LBB12_37
; %bb.25:
	v_and_b32_e32 v1, 31, v0
	s_mov_b32 s2, exec_lo
	s_delay_alu instid0(VALU_DEP_1)
	v_cmpx_eq_u32_e32 0, v1
	s_cbranch_execz .LBB12_27
; %bb.26:
	v_lshrrev_b32_e32 v2, 3, v0
	s_delay_alu instid0(VALU_DEP_1)
	v_add_nc_u32_e32 v2, 0, v2
	ds_store_b32 v2, v46
.LBB12_27:
	s_or_b32 exec_lo, exec_lo, s2
	s_lshr_b32 s2, s17, 5
	v_mov_b32_e32 v2, 0xff800000
	v_cmp_gt_u32_e32 vcc_lo, s2, v1
	s_waitcnt lgkmcnt(0)
	s_waitcnt_vscnt null, 0x0
	s_barrier
	buffer_gl0_inv
	s_and_saveexec_b32 s2, vcc_lo
	s_cbranch_execz .LBB12_29
; %bb.28:
	v_lshl_add_u32 v1, v1, 2, 0
	ds_load_b32 v2, v1
.LBB12_29:
	s_or_b32 exec_lo, exec_lo, s2
	s_waitcnt lgkmcnt(0)
	ds_bpermute_b32 v1, v41, v2
	s_waitcnt lgkmcnt(0)
	v_dual_max_f32 v2, v2, v2 :: v_dual_max_f32 v1, v1, v1
	s_delay_alu instid0(VALU_DEP_1) | instskip(SKIP_3) | instid1(VALU_DEP_1)
	v_max_f32_e32 v1, v2, v1
	ds_bpermute_b32 v2, v42, v1
	s_waitcnt lgkmcnt(0)
	v_max_f32_e32 v2, v2, v2
	v_max_f32_e32 v1, v1, v2
	ds_bpermute_b32 v2, v43, v1
	s_waitcnt lgkmcnt(0)
	v_max_f32_e32 v2, v2, v2
	s_delay_alu instid0(VALU_DEP_1) | instskip(SKIP_3) | instid1(VALU_DEP_1)
	v_max_f32_e32 v1, v1, v2
	ds_bpermute_b32 v2, v44, v1
	s_waitcnt lgkmcnt(0)
	v_max_f32_e32 v2, v2, v2
	v_max_f32_e32 v1, v1, v2
	ds_bpermute_b32 v2, v45, v1
	s_waitcnt lgkmcnt(0)
	v_max_f32_e32 v2, v2, v2
	s_delay_alu instid0(VALU_DEP_1)
	v_max_f32_e32 v46, v1, v2
	s_cbranch_execnz .LBB12_31
	s_branch .LBB12_38
.LBB12_30:
	s_mov_b32 s3, 0
	s_and_b32 vcc_lo, exec_lo, s24
	s_cbranch_vccz .LBB12_38
.LBB12_31:
	s_and_not1_b32 vcc_lo, exec_lo, s29
	s_cbranch_vccnz .LBB12_39
; %bb.32:
	v_lshlrev_b32_e32 v1, 2, v0
	s_mov_b32 s4, 0
	s_lshl_b32 s5, s17, 2
	s_mov_b32 s6, 0
	s_delay_alu instid0(VALU_DEP_1)
	v_add3_u32 v2, v1, 0, 0x80
	v_mov_b32_e32 v1, 0
	s_set_inst_prefetch_distance 0x1
	s_branch .LBB12_34
	.p2align	6
.LBB12_33:                              ;   in Loop: Header=BB12_34 Depth=1
	s_or_b32 exec_lo, exec_lo, s7
	s_add_i32 s6, s6, s17
	v_add_nc_u32_e32 v2, s5, v2
	s_cmp_ge_i32 s6, s26
	s_cselect_b32 s2, -1, 0
	s_xor_b32 s7, vcc_lo, -1
	s_delay_alu instid0(SALU_CYCLE_1) | instskip(NEXT) | instid1(SALU_CYCLE_1)
	s_or_b32 s2, s7, s2
	s_and_b32 s2, exec_lo, s2
	s_delay_alu instid0(SALU_CYCLE_1) | instskip(NEXT) | instid1(SALU_CYCLE_1)
	s_or_b32 s4, s2, s4
	s_and_not1_b32 exec_lo, exec_lo, s4
	s_cbranch_execz .LBB12_36
.LBB12_34:                              ; =>This Inner Loop Header: Depth=1
	v_add_nc_u32_e32 v3, s6, v0
	s_delay_alu instid0(VALU_DEP_1)
	v_cmp_gt_i32_e32 vcc_lo, s26, v3
	s_and_saveexec_b32 s7, vcc_lo
	s_cbranch_execz .LBB12_33
; %bb.35:                               ;   in Loop: Header=BB12_34 Depth=1
	ds_load_b32 v3, v2
	s_waitcnt lgkmcnt(0)
	v_sub_f32_e32 v3, v3, v46
	s_delay_alu instid0(VALU_DEP_1) | instskip(NEXT) | instid1(VALU_DEP_1)
	v_mul_f32_e32 v4, 0x3fb8aa3b, v3
	v_fma_f32 v5, 0x3fb8aa3b, v3, -v4
	v_rndne_f32_e32 v6, v4
	s_delay_alu instid0(VALU_DEP_1) | instskip(NEXT) | instid1(VALU_DEP_1)
	v_dual_fmac_f32 v5, 0x32a5705f, v3 :: v_dual_sub_f32 v4, v4, v6
	v_add_f32_e32 v4, v4, v5
	v_cvt_i32_f32_e32 v5, v6
	v_cmp_ngt_f32_e64 s2, 0xc2ce8ed0, v3
	s_delay_alu instid0(VALU_DEP_3) | instskip(SKIP_2) | instid1(VALU_DEP_1)
	v_exp_f32_e32 v4, v4
	s_waitcnt_depctr 0xfff
	v_ldexp_f32 v4, v4, v5
	v_cndmask_b32_e64 v4, 0, v4, s2
	v_cmp_nlt_f32_e64 s2, 0x42b17218, v3
	s_delay_alu instid0(VALU_DEP_1) | instskip(NEXT) | instid1(VALU_DEP_1)
	v_cndmask_b32_e64 v3, 0x7f800000, v4, s2
	v_add_f32_e32 v1, v1, v3
	ds_store_b32 v2, v3
	s_branch .LBB12_33
.LBB12_36:
	s_set_inst_prefetch_distance 0x2
	s_or_b32 exec_lo, exec_lo, s4
	s_branch .LBB12_40
.LBB12_37:
                                        ; implicit-def: $vgpr46
	s_and_b32 vcc_lo, exec_lo, s24
	s_cbranch_vccnz .LBB12_31
.LBB12_38:
	s_mov_b32 s2, 0
                                        ; implicit-def: $vgpr47
	s_branch .LBB12_44
.LBB12_39:
	v_mov_b32_e32 v1, 0
.LBB12_40:
	ds_bpermute_b32 v2, v41, v1
	s_and_not1_b32 vcc_lo, exec_lo, s23
	s_waitcnt lgkmcnt(0)
	v_add_f32_e32 v1, v1, v2
	ds_bpermute_b32 v2, v42, v1
	s_waitcnt lgkmcnt(0)
	v_add_f32_e32 v1, v1, v2
	ds_bpermute_b32 v2, v43, v1
	;; [unrolled: 3-line block ×4, first 2 shown]
	s_waitcnt lgkmcnt(0)
	v_add_f32_e32 v47, v1, v2
	s_cbranch_vccnz .LBB12_43
; %bb.41:
	s_cmpk_gt_u32 s17, 0x400
	s_mov_b32 s22, 0
	s_cselect_b32 s2, -1, 0
	s_and_b32 s4, s17, 31
	s_delay_alu instid0(SALU_CYCLE_1) | instskip(SKIP_1) | instid1(SALU_CYCLE_1)
	s_cmp_lg_u32 s4, 0
	s_cselect_b32 s4, -1, 0
	s_or_b32 s2, s2, s4
	s_delay_alu instid0(SALU_CYCLE_1)
	s_and_b32 vcc_lo, exec_lo, s2
	s_mov_b32 s2, -1
	s_cbranch_vccz .LBB12_44
; %bb.42:
	s_add_u32 s8, s0, 0xa0
	s_addc_u32 s9, s1, 0
	s_getpc_b64 s[0:1]
	s_add_u32 s0, s0, .str.2@rel32@lo+4
	s_addc_u32 s1, s1, .str.2@rel32@hi+12
	s_getpc_b64 s[2:3]
	s_add_u32 s2, s2, .str.3@rel32@lo+4
	s_addc_u32 s3, s3, .str.3@rel32@hi+12
	s_getpc_b64 s[4:5]
	s_add_u32 s4, s4, __PRETTY_FUNCTION__._ZL12block_reduceIL19block_reduce_method1ELj0EfET1_S1_PS1_@rel32@lo+4
	s_addc_u32 s5, s5, __PRETTY_FUNCTION__._ZL12block_reduceIL19block_reduce_method1ELj0EfET1_S1_PS1_@rel32@hi+12
	v_dual_mov_b32 v53, v0 :: v_dual_mov_b32 v0, s0
	v_dual_mov_b32 v1, s1 :: v_dual_mov_b32 v2, s2
	;; [unrolled: 1-line block ×4, first 2 shown]
	s_getpc_b64 s[6:7]
	s_add_u32 s6, s6, __assert_fail@rel32@lo+4
	s_addc_u32 s7, s7, __assert_fail@rel32@hi+12
	s_delay_alu instid0(SALU_CYCLE_1)
	s_swappc_b64 s[30:31], s[6:7]
	v_mov_b32_e32 v0, v53
	s_mov_b32 s3, -1
	s_mov_b32 s2, 0
	s_branch .LBB12_44
.LBB12_43:
	s_mov_b32 s2, 0
	s_mov_b32 s22, -1
.LBB12_44:
	s_and_b32 vcc_lo, exec_lo, s3
	s_cbranch_vccnz .LBB12_47
; %bb.45:
	s_and_not1_b32 vcc_lo, exec_lo, s2
	s_cbranch_vccz .LBB12_48
.LBB12_46:
	s_and_b32 vcc_lo, exec_lo, s22
	s_cbranch_vccnz .LBB12_53
	s_branch .LBB12_60
.LBB12_47:
	; divergent unreachable
	s_and_not1_b32 vcc_lo, exec_lo, s2
	s_cbranch_vccnz .LBB12_46
.LBB12_48:
	v_and_b32_e32 v1, 31, v0
	s_mov_b32 s0, exec_lo
	s_delay_alu instid0(VALU_DEP_1)
	v_cmpx_eq_u32_e32 0, v1
	s_cbranch_execz .LBB12_50
; %bb.49:
	v_lshrrev_b32_e32 v2, 3, v0
	s_delay_alu instid0(VALU_DEP_1)
	v_add_nc_u32_e32 v2, 0, v2
	ds_store_b32 v2, v47
.LBB12_50:
	s_or_b32 exec_lo, exec_lo, s0
	s_lshr_b32 s0, s17, 5
	v_mov_b32_e32 v2, 0
	v_cmp_gt_u32_e32 vcc_lo, s0, v1
	s_waitcnt lgkmcnt(0)
	s_waitcnt_vscnt null, 0x0
	s_barrier
	buffer_gl0_inv
	s_and_saveexec_b32 s0, vcc_lo
	s_cbranch_execz .LBB12_52
; %bb.51:
	v_lshl_add_u32 v1, v1, 2, 0
	ds_load_b32 v2, v1
.LBB12_52:
	s_or_b32 exec_lo, exec_lo, s0
	s_waitcnt lgkmcnt(0)
	ds_bpermute_b32 v1, v41, v2
	s_waitcnt lgkmcnt(0)
	v_add_f32_e32 v1, v2, v1
	ds_bpermute_b32 v2, v42, v1
	s_waitcnt lgkmcnt(0)
	v_add_f32_e32 v1, v1, v2
	;; [unrolled: 3-line block ×5, first 2 shown]
	s_cbranch_execz .LBB12_60
.LBB12_53:
	s_and_not1_b32 vcc_lo, exec_lo, s34
	s_cbranch_vccnz .LBB12_55
; %bb.54:
	s_lshl_b64 s[0:1], s[18:19], 2
	v_mov_b32_e32 v1, 0
	s_add_u32 s0, s40, s0
	s_addc_u32 s1, s41, s1
	global_load_b32 v1, v1, s[0:1]
	s_waitcnt vmcnt(0)
	v_sub_f32_e32 v1, v1, v46
	s_delay_alu instid0(VALU_DEP_1) | instskip(NEXT) | instid1(VALU_DEP_1)
	v_mul_f32_e32 v2, 0x3fb8aa3b, v1
	v_fma_f32 v3, 0x3fb8aa3b, v1, -v2
	v_rndne_f32_e32 v4, v2
	s_delay_alu instid0(VALU_DEP_1) | instskip(NEXT) | instid1(VALU_DEP_1)
	v_dual_fmamk_f32 v3, v1, 0x32a5705f, v3 :: v_dual_sub_f32 v2, v2, v4
	v_add_f32_e32 v2, v2, v3
	v_cvt_i32_f32_e32 v3, v4
	v_cmp_ngt_f32_e32 vcc_lo, 0xc2ce8ed0, v1
	s_delay_alu instid0(VALU_DEP_3) | instskip(SKIP_2) | instid1(VALU_DEP_1)
	v_exp_f32_e32 v2, v2
	s_waitcnt_depctr 0xfff
	v_ldexp_f32 v2, v2, v3
	v_cndmask_b32_e32 v2, 0, v2, vcc_lo
	v_cmp_nlt_f32_e32 vcc_lo, 0x42b17218, v1
	s_delay_alu instid0(VALU_DEP_2) | instskip(NEXT) | instid1(VALU_DEP_1)
	v_cndmask_b32_e32 v1, 0x7f800000, v2, vcc_lo
	v_add_f32_e32 v47, v47, v1
.LBB12_55:
	s_and_not1_b32 vcc_lo, exec_lo, s29
	s_cbranch_vccnz .LBB12_60
; %bb.56:
	s_delay_alu instid0(VALU_DEP_1) | instskip(SKIP_2) | instid1(VALU_DEP_2)
	v_div_scale_f32 v1, null, v47, v47, 1.0
	v_div_scale_f32 v4, vcc_lo, 1.0, v47, 1.0
	s_mul_hi_i32 s1, s27, s28
	v_rcp_f32_e32 v2, v1
	s_mul_i32 s0, s27, s28
	s_delay_alu instid0(SALU_CYCLE_1)
	s_lshl_b64 s[2:3], s[0:1], 2
	s_lshl_b32 s0, s17, 2
	s_add_u32 s1, s42, s2
	s_addc_u32 s2, s43, s3
                                        ; implicit-def: $sgpr3
	s_waitcnt_depctr 0xfff
	v_fma_f32 v3, -v1, v2, 1.0
	s_delay_alu instid0(VALU_DEP_1) | instskip(NEXT) | instid1(VALU_DEP_1)
	v_fmac_f32_e32 v2, v3, v2
	v_mul_f32_e32 v3, v4, v2
	s_delay_alu instid0(VALU_DEP_1) | instskip(NEXT) | instid1(VALU_DEP_1)
	v_fma_f32 v5, -v1, v3, v4
	v_fmac_f32_e32 v3, v5, v2
	v_lshlrev_b32_e32 v5, 2, v0
	s_delay_alu instid0(VALU_DEP_2) | instskip(NEXT) | instid1(VALU_DEP_1)
	v_fma_f32 v1, -v1, v3, v4
	v_div_fmas_f32 v1, v1, v2, v3
	s_delay_alu instid0(VALU_DEP_3) | instskip(NEXT) | instid1(VALU_DEP_2)
	v_add3_u32 v3, v5, 0, 0x80
	v_div_fixup_f32 v4, v1, v47, 1.0
	v_add_co_u32 v1, s1, s1, v5
	s_delay_alu instid0(VALU_DEP_1)
	v_add_co_ci_u32_e64 v2, null, s2, 0, s1
	s_mov_b32 s1, 0
	s_mov_b32 s2, 0
	s_set_inst_prefetch_distance 0x1
	s_branch .LBB12_58
	.p2align	6
.LBB12_57:                              ;   in Loop: Header=BB12_58 Depth=1
	s_or_b32 exec_lo, exec_lo, s4
	s_delay_alu instid0(SALU_CYCLE_1) | instskip(NEXT) | instid1(SALU_CYCLE_1)
	s_and_b32 s4, exec_lo, s3
	s_or_b32 s1, s4, s1
	s_delay_alu instid0(SALU_CYCLE_1)
	s_and_not1_b32 exec_lo, exec_lo, s1
	s_cbranch_execz .LBB12_60
.LBB12_58:                              ; =>This Inner Loop Header: Depth=1
	v_add_nc_u32_e32 v5, s2, v0
	s_or_b32 s3, s3, exec_lo
	s_mov_b32 s4, exec_lo
	s_delay_alu instid0(VALU_DEP_1)
	v_cmpx_gt_i32_e64 s26, v5
	s_cbranch_execz .LBB12_57
; %bb.59:                               ;   in Loop: Header=BB12_58 Depth=1
	ds_load_b32 v5, v3
	s_add_i32 s2, s2, s17
	v_add_nc_u32_e32 v3, s0, v3
	s_cmp_ge_i32 s2, s26
	s_cselect_b32 s5, -1, 0
	s_and_not1_b32 s3, s3, exec_lo
	s_and_b32 s5, s5, exec_lo
	s_delay_alu instid0(SALU_CYCLE_1)
	s_or_b32 s3, s3, s5
	s_waitcnt lgkmcnt(0)
	v_mul_f32_e32 v5, v4, v5
	global_store_b32 v[1:2], v5, off
	v_add_co_u32 v1, vcc_lo, v1, s0
	v_add_co_ci_u32_e32 v2, vcc_lo, 0, v2, vcc_lo
	s_branch .LBB12_57
.LBB12_60:
	s_set_inst_prefetch_distance 0x2
	s_endpgm
	.section	.rodata,"a",@progbits
	.p2align	6, 0x0
	.amdhsa_kernel _ZL12soft_max_f32ILb1ELi0ELi0E6__halfEvPKfPKT2_S2_Pf15soft_max_params
		.amdhsa_group_segment_fixed_size 0
		.amdhsa_private_segment_fixed_size 64
		.amdhsa_kernarg_size 416
		.amdhsa_user_sgpr_count 13
		.amdhsa_user_sgpr_dispatch_ptr 0
		.amdhsa_user_sgpr_queue_ptr 0
		.amdhsa_user_sgpr_kernarg_segment_ptr 1
		.amdhsa_user_sgpr_dispatch_id 0
		.amdhsa_user_sgpr_private_segment_size 0
		.amdhsa_wavefront_size32 1
		.amdhsa_uses_dynamic_stack 0
		.amdhsa_enable_private_segment 1
		.amdhsa_system_sgpr_workgroup_id_x 1
		.amdhsa_system_sgpr_workgroup_id_y 1
		.amdhsa_system_sgpr_workgroup_id_z 1
		.amdhsa_system_sgpr_workgroup_info 0
		.amdhsa_system_vgpr_workitem_id 0
		.amdhsa_next_free_vgpr 54
		.amdhsa_next_free_sgpr 44
		.amdhsa_reserve_vcc 1
		.amdhsa_float_round_mode_32 0
		.amdhsa_float_round_mode_16_64 0
		.amdhsa_float_denorm_mode_32 3
		.amdhsa_float_denorm_mode_16_64 3
		.amdhsa_dx10_clamp 1
		.amdhsa_ieee_mode 1
		.amdhsa_fp16_overflow 0
		.amdhsa_workgroup_processor_mode 1
		.amdhsa_memory_ordered 1
		.amdhsa_forward_progress 0
		.amdhsa_shared_vgpr_count 0
		.amdhsa_exception_fp_ieee_invalid_op 0
		.amdhsa_exception_fp_denorm_src 0
		.amdhsa_exception_fp_ieee_div_zero 0
		.amdhsa_exception_fp_ieee_overflow 0
		.amdhsa_exception_fp_ieee_underflow 0
		.amdhsa_exception_fp_ieee_inexact 0
		.amdhsa_exception_int_div_zero 0
	.end_amdhsa_kernel
	.section	.text._ZL12soft_max_f32ILb1ELi0ELi0E6__halfEvPKfPKT2_S2_Pf15soft_max_params,"axG",@progbits,_ZL12soft_max_f32ILb1ELi0ELi0E6__halfEvPKfPKT2_S2_Pf15soft_max_params,comdat
.Lfunc_end12:
	.size	_ZL12soft_max_f32ILb1ELi0ELi0E6__halfEvPKfPKT2_S2_Pf15soft_max_params, .Lfunc_end12-_ZL12soft_max_f32ILb1ELi0ELi0E6__halfEvPKfPKT2_S2_Pf15soft_max_params
                                        ; -- End function
	.section	.AMDGPU.csdata,"",@progbits
; Kernel info:
; codeLenInByte = 5416
; NumSgprs: 46
; NumVgprs: 54
; ScratchSize: 64
; MemoryBound: 0
; FloatMode: 240
; IeeeMode: 1
; LDSByteSize: 0 bytes/workgroup (compile time only)
; SGPRBlocks: 5
; VGPRBlocks: 6
; NumSGPRsForWavesPerEU: 46
; NumVGPRsForWavesPerEU: 54
; Occupancy: 16
; WaveLimiterHint : 1
; COMPUTE_PGM_RSRC2:SCRATCH_EN: 1
; COMPUTE_PGM_RSRC2:USER_SGPR: 13
; COMPUTE_PGM_RSRC2:TRAP_HANDLER: 0
; COMPUTE_PGM_RSRC2:TGID_X_EN: 1
; COMPUTE_PGM_RSRC2:TGID_Y_EN: 1
; COMPUTE_PGM_RSRC2:TGID_Z_EN: 1
; COMPUTE_PGM_RSRC2:TIDIG_COMP_CNT: 0
	.section	.text._ZL12soft_max_f32ILb0ELi0ELi0E6__halfEvPKfPKT2_S2_Pf15soft_max_params,"axG",@progbits,_ZL12soft_max_f32ILb0ELi0ELi0E6__halfEvPKfPKT2_S2_Pf15soft_max_params,comdat
	.globl	_ZL12soft_max_f32ILb0ELi0ELi0E6__halfEvPKfPKT2_S2_Pf15soft_max_params ; -- Begin function _ZL12soft_max_f32ILb0ELi0ELi0E6__halfEvPKfPKT2_S2_Pf15soft_max_params
	.p2align	8
	.type	_ZL12soft_max_f32ILb0ELi0ELi0E6__halfEvPKfPKT2_S2_Pf15soft_max_params,@function
_ZL12soft_max_f32ILb0ELi0ELi0E6__halfEvPKfPKT2_S2_Pf15soft_max_params: ; @_ZL12soft_max_f32ILb0ELi0ELi0E6__halfEvPKfPKT2_S2_Pf15soft_max_params
; %bb.0:
	s_clause 0x1
	s_load_b256 s[20:27], s[0:1], 0x68
	s_load_b64 s[4:5], s[0:1], 0x88
	s_mov_b32 s19, 0
	s_add_u32 s6, s0, 0xa0
	s_mov_b32 s2, s19
	s_addc_u32 s7, s1, 0
	s_mov_b32 s18, s14
	s_mov_b32 s32, 0
	s_waitcnt lgkmcnt(0)
	s_mov_b32 s3, s27
	s_delay_alu instid0(SALU_CYCLE_1)
	s_cmp_lg_u64 s[2:3], 0
	s_cbranch_scc0 .LBB13_10
; %bb.1:
	s_ashr_i32 s2, s27, 31
	s_delay_alu instid0(SALU_CYCLE_1) | instskip(SKIP_2) | instid1(SALU_CYCLE_1)
	s_add_u32 s8, s26, s2
	s_mov_b32 s3, s2
	s_addc_u32 s9, s27, s2
	s_xor_b64 s[2:3], s[8:9], s[2:3]
	s_delay_alu instid0(SALU_CYCLE_1) | instskip(SKIP_3) | instid1(VALU_DEP_1)
	v_cvt_f32_u32_e32 v1, s2
	v_cvt_f32_u32_e32 v2, s3
	s_sub_u32 s10, 0, s2
	s_subb_u32 s11, 0, s3
	v_fmamk_f32 v1, v2, 0x4f800000, v1
	s_delay_alu instid0(VALU_DEP_1) | instskip(SKIP_2) | instid1(VALU_DEP_1)
	v_rcp_f32_e32 v1, v1
	s_waitcnt_depctr 0xfff
	v_mul_f32_e32 v1, 0x5f7ffffc, v1
	v_mul_f32_e32 v2, 0x2f800000, v1
	s_delay_alu instid0(VALU_DEP_1) | instskip(NEXT) | instid1(VALU_DEP_1)
	v_trunc_f32_e32 v2, v2
	v_fmamk_f32 v1, v2, 0xcf800000, v1
	v_cvt_u32_f32_e32 v2, v2
	s_delay_alu instid0(VALU_DEP_2) | instskip(NEXT) | instid1(VALU_DEP_2)
	v_cvt_u32_f32_e32 v1, v1
	v_readfirstlane_b32 s8, v2
	s_delay_alu instid0(VALU_DEP_2) | instskip(NEXT) | instid1(VALU_DEP_2)
	v_readfirstlane_b32 s9, v1
	s_mul_i32 s12, s10, s8
	s_delay_alu instid0(VALU_DEP_1)
	s_mul_hi_u32 s16, s10, s9
	s_mul_i32 s14, s11, s9
	s_add_i32 s12, s16, s12
	s_mul_i32 s17, s10, s9
	s_add_i32 s12, s12, s14
	s_mul_hi_u32 s16, s9, s17
	s_mul_hi_u32 s27, s8, s17
	s_mul_i32 s14, s8, s17
	s_mul_hi_u32 s17, s9, s12
	s_mul_i32 s9, s9, s12
	s_mul_hi_u32 s28, s8, s12
	s_add_u32 s9, s16, s9
	s_addc_u32 s16, 0, s17
	s_add_u32 s9, s9, s14
	s_mul_i32 s12, s8, s12
	s_addc_u32 s9, s16, s27
	s_addc_u32 s14, s28, 0
	s_add_u32 s9, s9, s12
	s_addc_u32 s12, 0, s14
	v_add_co_u32 v1, s9, v1, s9
	s_delay_alu instid0(VALU_DEP_1) | instskip(SKIP_1) | instid1(VALU_DEP_1)
	s_cmp_lg_u32 s9, 0
	s_addc_u32 s8, s8, s12
	v_readfirstlane_b32 s9, v1
	s_mul_i32 s12, s10, s8
	s_delay_alu instid0(VALU_DEP_1)
	s_mul_hi_u32 s14, s10, s9
	s_mul_i32 s11, s11, s9
	s_add_i32 s12, s14, s12
	s_mul_i32 s10, s10, s9
	s_add_i32 s12, s12, s11
	s_mul_hi_u32 s14, s8, s10
	s_mul_i32 s16, s8, s10
	s_mul_hi_u32 s10, s9, s10
	s_mul_hi_u32 s17, s9, s12
	s_mul_i32 s9, s9, s12
	s_mul_hi_u32 s11, s8, s12
	s_add_u32 s9, s10, s9
	s_addc_u32 s10, 0, s17
	s_add_u32 s9, s9, s16
	s_mul_i32 s12, s8, s12
	s_addc_u32 s9, s10, s14
	s_addc_u32 s10, s11, 0
	s_add_u32 s9, s9, s12
	s_addc_u32 s10, 0, s10
	v_add_co_u32 v1, s9, v1, s9
	s_delay_alu instid0(VALU_DEP_1) | instskip(SKIP_1) | instid1(VALU_DEP_1)
	s_cmp_lg_u32 s9, 0
	s_addc_u32 s8, s8, s10
	v_readfirstlane_b32 s9, v1
	s_mul_i32 s10, s18, s8
	s_mul_hi_u32 s8, s18, s8
	s_delay_alu instid0(VALU_DEP_1) | instskip(NEXT) | instid1(SALU_CYCLE_1)
	s_mul_hi_u32 s9, s18, s9
	s_add_u32 s9, s9, s10
	s_addc_u32 s8, 0, s8
	s_add_u32 s9, s9, 0
	s_addc_u32 s8, s8, 0
	s_addc_u32 s9, 0, 0
	s_add_u32 s8, s8, 0
	s_addc_u32 s9, 0, s9
	s_mul_hi_u32 s10, s2, s8
	s_mul_i32 s9, s2, s9
	s_mul_i32 s11, s3, s8
	;; [unrolled: 1-line block ×3, first 2 shown]
	s_add_i32 s9, s10, s9
	v_sub_co_u32 v1, s8, s18, s8
	s_add_i32 s9, s9, s11
	s_delay_alu instid0(SALU_CYCLE_1) | instskip(SKIP_1) | instid1(VALU_DEP_1)
	s_sub_i32 s10, 0, s9
	s_cmp_lg_u32 s8, 0
	v_sub_co_u32 v2, s11, v1, s2
	s_subb_u32 s10, s10, s3
	s_cmp_lg_u32 s11, 0
	s_subb_u32 s12, s10, 0
	s_delay_alu instid0(VALU_DEP_1)
	v_cmp_le_u32_e32 vcc_lo, s2, v2
	s_cmp_ge_u32 s12, s3
	s_cselect_b32 s14, -1, 0
	s_cmp_eq_u32 s12, s3
	v_cndmask_b32_e64 v3, 0, -1, vcc_lo
	s_cselect_b32 vcc_lo, -1, 0
	s_cmp_lg_u32 s11, 0
	v_sub_co_u32 v4, s11, v2, s2
	s_subb_u32 s10, s10, s3
	s_cmp_lg_u32 s11, 0
	v_cndmask_b32_e32 v3, s14, v3, vcc_lo
	s_subb_u32 s10, s10, 0
	s_cmp_lg_u32 s8, 0
	v_cmp_le_u32_e32 vcc_lo, s2, v1
	s_subb_u32 s8, 0, s9
	s_delay_alu instid0(SALU_CYCLE_1)
	s_cmp_ge_u32 s8, s3
	v_cndmask_b32_e64 v5, 0, -1, vcc_lo
	s_cselect_b32 s9, -1, 0
	s_cmp_eq_u32 s8, s3
	v_cmp_ne_u32_e32 vcc_lo, 0, v3
	v_mov_b32_e32 v3, s10
	s_cselect_b32 s2, -1, 0
	s_delay_alu instid0(SALU_CYCLE_1) | instskip(SKIP_1) | instid1(VALU_DEP_3)
	v_cndmask_b32_e64 v5, s9, v5, s2
	v_cndmask_b32_e32 v2, v2, v4, vcc_lo
	v_cndmask_b32_e32 v3, s12, v3, vcc_lo
	s_mov_b32 s2, s19
	s_delay_alu instid0(VALU_DEP_3) | instskip(NEXT) | instid1(VALU_DEP_3)
	v_cmp_ne_u32_e32 vcc_lo, 0, v5
	v_cndmask_b32_e32 v1, v1, v2, vcc_lo
	s_delay_alu instid0(VALU_DEP_3) | instskip(NEXT) | instid1(VALU_DEP_2)
	v_cndmask_b32_e32 v3, s8, v3, vcc_lo
	v_sub_co_u32 v1, vcc_lo, v1, 0
	s_delay_alu instid0(VALU_DEP_2)
	v_subrev_co_ci_u32_e32 v2, vcc_lo, 0, v3, vcc_lo
	s_and_not1_b32 vcc_lo, exec_lo, s2
	s_cbranch_vccnz .LBB13_3
.LBB13_2:
	v_cvt_f32_u32_e32 v1, s26
	s_sub_i32 s3, 0, s26
	s_delay_alu instid0(VALU_DEP_1) | instskip(SKIP_2) | instid1(VALU_DEP_1)
	v_rcp_iflag_f32_e32 v1, v1
	s_waitcnt_depctr 0xfff
	v_mul_f32_e32 v1, 0x4f7ffffe, v1
	v_cvt_u32_f32_e32 v1, v1
	s_delay_alu instid0(VALU_DEP_1) | instskip(NEXT) | instid1(VALU_DEP_1)
	v_readfirstlane_b32 s2, v1
	s_mul_i32 s3, s3, s2
	s_delay_alu instid0(SALU_CYCLE_1) | instskip(NEXT) | instid1(SALU_CYCLE_1)
	s_mul_hi_u32 s3, s2, s3
	s_add_i32 s2, s2, s3
	s_delay_alu instid0(SALU_CYCLE_1) | instskip(NEXT) | instid1(SALU_CYCLE_1)
	s_mul_hi_u32 s2, s18, s2
	s_mul_i32 s2, s2, s26
	s_delay_alu instid0(SALU_CYCLE_1) | instskip(NEXT) | instid1(SALU_CYCLE_1)
	s_sub_i32 s2, s18, s2
	s_sub_i32 s3, s2, s26
	s_cmp_ge_u32 s2, s26
	s_cselect_b32 s2, s3, s2
	s_mov_b32 s3, 0
	s_sub_i32 s8, s2, s26
	s_cmp_ge_u32 s2, s26
	s_cselect_b32 s2, s8, s2
	s_delay_alu instid0(SALU_CYCLE_1)
	v_dual_mov_b32 v1, s2 :: v_dual_mov_b32 v2, s3
.LBB13_3:
	s_load_b64 s[8:9], s[0:1], 0x90
	s_mov_b32 s10, 0
	s_mov_b32 s11, s5
	s_delay_alu instid0(SALU_CYCLE_1)
	s_cmp_lg_u64 s[10:11], 0
	s_cbranch_scc0 .LBB13_11
; %bb.4:
	s_ashr_i32 s2, s5, 31
	s_delay_alu instid0(SALU_CYCLE_1) | instskip(SKIP_2) | instid1(SALU_CYCLE_1)
	s_add_u32 s16, s4, s2
	s_mov_b32 s3, s2
	s_addc_u32 s17, s5, s2
	s_xor_b64 s[2:3], s[16:17], s[2:3]
	s_delay_alu instid0(SALU_CYCLE_1) | instskip(SKIP_3) | instid1(VALU_DEP_1)
	v_cvt_f32_u32_e32 v3, s2
	v_cvt_f32_u32_e32 v4, s3
	s_sub_u32 s12, 0, s2
	s_subb_u32 s14, 0, s3
	v_fmamk_f32 v3, v4, 0x4f800000, v3
	s_delay_alu instid0(VALU_DEP_1) | instskip(SKIP_2) | instid1(VALU_DEP_1)
	v_rcp_f32_e32 v3, v3
	s_waitcnt_depctr 0xfff
	v_mul_f32_e32 v3, 0x5f7ffffc, v3
	v_mul_f32_e32 v4, 0x2f800000, v3
	s_delay_alu instid0(VALU_DEP_1) | instskip(NEXT) | instid1(VALU_DEP_1)
	v_trunc_f32_e32 v4, v4
	v_fmamk_f32 v3, v4, 0xcf800000, v3
	v_cvt_u32_f32_e32 v4, v4
	s_delay_alu instid0(VALU_DEP_2) | instskip(NEXT) | instid1(VALU_DEP_2)
	v_cvt_u32_f32_e32 v3, v3
	v_readfirstlane_b32 s5, v4
	s_delay_alu instid0(VALU_DEP_2) | instskip(NEXT) | instid1(VALU_DEP_2)
	v_readfirstlane_b32 s11, v3
	s_mul_i32 s16, s12, s5
	s_delay_alu instid0(VALU_DEP_1)
	s_mul_hi_u32 s26, s12, s11
	s_mul_i32 s17, s14, s11
	s_add_i32 s16, s26, s16
	s_mul_i32 s27, s12, s11
	s_add_i32 s16, s16, s17
	s_mul_hi_u32 s26, s11, s27
	s_mul_hi_u32 s28, s5, s27
	s_mul_i32 s17, s5, s27
	s_mul_hi_u32 s27, s11, s16
	s_mul_i32 s11, s11, s16
	s_mul_hi_u32 s29, s5, s16
	s_add_u32 s11, s26, s11
	s_addc_u32 s26, 0, s27
	s_add_u32 s11, s11, s17
	s_mul_i32 s16, s5, s16
	s_addc_u32 s11, s26, s28
	s_addc_u32 s17, s29, 0
	s_add_u32 s11, s11, s16
	s_addc_u32 s16, 0, s17
	v_add_co_u32 v3, s11, v3, s11
	s_delay_alu instid0(VALU_DEP_1) | instskip(SKIP_1) | instid1(VALU_DEP_1)
	s_cmp_lg_u32 s11, 0
	s_addc_u32 s5, s5, s16
	v_readfirstlane_b32 s11, v3
	s_mul_i32 s16, s12, s5
	s_delay_alu instid0(VALU_DEP_1)
	s_mul_hi_u32 s17, s12, s11
	s_mul_i32 s14, s14, s11
	s_add_i32 s16, s17, s16
	s_mul_i32 s12, s12, s11
	s_add_i32 s16, s16, s14
	s_mul_hi_u32 s17, s5, s12
	s_mul_i32 s26, s5, s12
	s_mul_hi_u32 s12, s11, s12
	s_mul_hi_u32 s27, s11, s16
	s_mul_i32 s11, s11, s16
	s_mul_hi_u32 s14, s5, s16
	s_add_u32 s11, s12, s11
	s_addc_u32 s12, 0, s27
	s_add_u32 s11, s11, s26
	s_mul_i32 s16, s5, s16
	s_addc_u32 s11, s12, s17
	s_addc_u32 s12, s14, 0
	s_add_u32 s11, s11, s16
	s_addc_u32 s12, 0, s12
	v_add_co_u32 v3, s11, v3, s11
	s_delay_alu instid0(VALU_DEP_1) | instskip(SKIP_1) | instid1(VALU_DEP_1)
	s_cmp_lg_u32 s11, 0
	s_addc_u32 s5, s5, s12
	v_readfirstlane_b32 s11, v3
	s_mul_i32 s12, s15, s5
	s_mul_hi_u32 s5, s15, s5
	s_delay_alu instid0(VALU_DEP_1) | instskip(NEXT) | instid1(SALU_CYCLE_1)
	s_mul_hi_u32 s11, s15, s11
	s_add_u32 s11, s11, s12
	s_addc_u32 s5, 0, s5
	s_add_u32 s11, s11, 0
	s_addc_u32 s5, s5, 0
	s_addc_u32 s11, 0, 0
	s_add_u32 s5, s5, 0
	s_addc_u32 s11, 0, s11
	s_mul_hi_u32 s12, s2, s5
	s_mul_i32 s11, s2, s11
	s_mul_i32 s14, s3, s5
	s_mul_i32 s5, s2, s5
	s_add_i32 s11, s12, s11
	v_sub_co_u32 v3, s5, s15, s5
	s_add_i32 s11, s11, s14
	s_delay_alu instid0(SALU_CYCLE_1) | instskip(SKIP_1) | instid1(VALU_DEP_1)
	s_sub_i32 s12, 0, s11
	s_cmp_lg_u32 s5, 0
	v_sub_co_u32 v4, s14, v3, s2
	s_subb_u32 s12, s12, s3
	s_cmp_lg_u32 s14, 0
	s_subb_u32 s16, s12, 0
	s_delay_alu instid0(VALU_DEP_1)
	v_cmp_le_u32_e32 vcc_lo, s2, v4
	s_cmp_ge_u32 s16, s3
	s_cselect_b32 s17, -1, 0
	s_cmp_eq_u32 s16, s3
	v_cndmask_b32_e64 v5, 0, -1, vcc_lo
	s_cselect_b32 vcc_lo, -1, 0
	s_cmp_lg_u32 s14, 0
	v_sub_co_u32 v6, s14, v4, s2
	s_subb_u32 s12, s12, s3
	s_cmp_lg_u32 s14, 0
	v_cndmask_b32_e32 v5, s17, v5, vcc_lo
	s_subb_u32 s12, s12, 0
	s_cmp_lg_u32 s5, 0
	v_cmp_le_u32_e32 vcc_lo, s2, v3
	s_subb_u32 s5, 0, s11
	s_delay_alu instid0(SALU_CYCLE_1)
	s_cmp_ge_u32 s5, s3
	v_cndmask_b32_e64 v7, 0, -1, vcc_lo
	s_cselect_b32 s11, -1, 0
	s_cmp_eq_u32 s5, s3
	v_cmp_ne_u32_e32 vcc_lo, 0, v5
	v_mov_b32_e32 v5, s12
	s_cselect_b32 s2, -1, 0
	s_delay_alu instid0(SALU_CYCLE_1) | instskip(SKIP_1) | instid1(VALU_DEP_3)
	v_cndmask_b32_e64 v7, s11, v7, s2
	v_cndmask_b32_e32 v4, v4, v6, vcc_lo
	v_cndmask_b32_e32 v5, s16, v5, vcc_lo
	s_delay_alu instid0(VALU_DEP_3) | instskip(NEXT) | instid1(VALU_DEP_3)
	v_cmp_ne_u32_e32 vcc_lo, 0, v7
	v_cndmask_b32_e32 v3, v3, v4, vcc_lo
	s_delay_alu instid0(VALU_DEP_3) | instskip(NEXT) | instid1(VALU_DEP_2)
	v_cndmask_b32_e32 v5, s5, v5, vcc_lo
	v_sub_co_u32 v3, vcc_lo, v3, 0
	s_delay_alu instid0(VALU_DEP_2)
	v_subrev_co_ci_u32_e32 v4, vcc_lo, 0, v5, vcc_lo
	s_and_not1_b32 vcc_lo, exec_lo, s10
	s_cbranch_vccnz .LBB13_6
.LBB13_5:
	v_cvt_f32_u32_e32 v3, s4
	s_sub_i32 s3, 0, s4
	s_delay_alu instid0(VALU_DEP_1) | instskip(SKIP_2) | instid1(VALU_DEP_1)
	v_rcp_iflag_f32_e32 v3, v3
	s_waitcnt_depctr 0xfff
	v_mul_f32_e32 v3, 0x4f7ffffe, v3
	v_cvt_u32_f32_e32 v3, v3
	s_delay_alu instid0(VALU_DEP_1) | instskip(NEXT) | instid1(VALU_DEP_1)
	v_readfirstlane_b32 s2, v3
	s_mul_i32 s3, s3, s2
	s_delay_alu instid0(SALU_CYCLE_1) | instskip(NEXT) | instid1(SALU_CYCLE_1)
	s_mul_hi_u32 s3, s2, s3
	s_add_i32 s2, s2, s3
	s_delay_alu instid0(SALU_CYCLE_1) | instskip(NEXT) | instid1(SALU_CYCLE_1)
	s_mul_hi_u32 s2, s15, s2
	s_mul_i32 s2, s2, s4
	s_delay_alu instid0(SALU_CYCLE_1) | instskip(NEXT) | instid1(SALU_CYCLE_1)
	s_sub_i32 s2, s15, s2
	s_sub_i32 s3, s2, s4
	s_cmp_ge_u32 s2, s4
	s_cselect_b32 s2, s3, s2
	s_mov_b32 s3, 0
	s_sub_i32 s5, s2, s4
	s_cmp_ge_u32 s2, s4
	s_cselect_b32 s2, s5, s2
	s_delay_alu instid0(SALU_CYCLE_1)
	v_dual_mov_b32 v4, s3 :: v_dual_mov_b32 v3, s2
.LBB13_6:
	s_clause 0x1
	s_load_b64 s[26:27], s[0:1], 0x30
	s_load_b64 s[10:11], s[0:1], 0xa0
	s_waitcnt lgkmcnt(0)
	v_cmp_le_f32_e64 s2, s9, 0
	v_mov_b32_e32 v5, 1.0
	s_delay_alu instid0(VALU_DEP_2)
	s_and_b32 vcc_lo, exec_lo, s2
	s_cbranch_vccnz .LBB13_8
; %bb.7:
	s_clause 0x1
	s_load_b32 s4, s[0:1], 0x28
	s_load_b64 s[2:3], s[0:1], 0x98
	s_add_i32 s9, s18, 1
	s_waitcnt lgkmcnt(0)
	s_sub_i32 s5, s18, s4
	v_mov_b32_e32 v5, s2
	s_lshl_b32 s5, s5, 1
	s_delay_alu instid0(SALU_CYCLE_1)
	s_or_b32 s2, s5, 1
	s_cmp_lt_u32 s18, s4
	s_cselect_b32 vcc_lo, -1, 0
	v_cndmask_b32_e32 v7, s3, v5, vcc_lo
	s_and_b32 s3, vcc_lo, exec_lo
	s_cselect_b32 s2, s9, s2
	s_mov_b32 s3, 0x3e76c4e1
	v_cvt_f32_i32_e32 v5, s2
	v_cmp_neq_f32_e32 vcc_lo, 1.0, v7
	s_delay_alu instid0(VALU_DEP_2) | instskip(NEXT) | instid1(VALU_DEP_1)
	v_cndmask_b32_e32 v8, 1.0, v5, vcc_lo
	v_cmp_eq_f32_e32 vcc_lo, 0, v8
	v_cndmask_b32_e64 v9, |v7|, 1.0, vcc_lo
	s_delay_alu instid0(VALU_DEP_1) | instskip(NEXT) | instid1(VALU_DEP_1)
	v_frexp_mant_f32_e32 v5, v9
	v_cmp_gt_f32_e64 s2, 0x3f2aaaab, v5
	s_delay_alu instid0(VALU_DEP_1) | instskip(NEXT) | instid1(VALU_DEP_1)
	v_cndmask_b32_e64 v6, 1.0, 2.0, s2
	v_mul_f32_e32 v5, v5, v6
	s_delay_alu instid0(VALU_DEP_1) | instskip(SKIP_1) | instid1(VALU_DEP_2)
	v_add_f32_e32 v6, 1.0, v5
	v_add_f32_e32 v11, -1.0, v5
	v_rcp_f32_e32 v10, v6
	s_waitcnt_depctr 0xfff
	v_mul_f32_e32 v12, v11, v10
	s_delay_alu instid0(VALU_DEP_1) | instskip(NEXT) | instid1(VALU_DEP_1)
	v_dual_add_f32 v13, -1.0, v6 :: v_dual_mul_f32 v14, v6, v12
	v_sub_f32_e32 v5, v5, v13
	v_cndmask_b32_e64 v7, v7, 1.0, vcc_lo
	s_delay_alu instid0(VALU_DEP_3) | instskip(NEXT) | instid1(VALU_DEP_2)
	v_fma_f32 v6, v12, v6, -v14
	v_cmp_eq_f32_e64 s4, 0, v7
	s_delay_alu instid0(VALU_DEP_2) | instskip(NEXT) | instid1(VALU_DEP_1)
	v_fmac_f32_e32 v6, v12, v5
	v_add_f32_e32 v5, v14, v6
	s_delay_alu instid0(VALU_DEP_1) | instskip(NEXT) | instid1(VALU_DEP_1)
	v_dual_sub_f32 v14, v5, v14 :: v_dual_sub_f32 v13, v11, v5
	v_dual_sub_f32 v6, v14, v6 :: v_dual_sub_f32 v11, v11, v13
	s_delay_alu instid0(VALU_DEP_1) | instskip(NEXT) | instid1(VALU_DEP_1)
	v_sub_f32_e32 v5, v11, v5
	v_add_f32_e32 v5, v6, v5
	s_delay_alu instid0(VALU_DEP_1) | instskip(NEXT) | instid1(VALU_DEP_1)
	v_add_f32_e32 v5, v13, v5
	v_mul_f32_e32 v5, v10, v5
	s_delay_alu instid0(VALU_DEP_1) | instskip(NEXT) | instid1(VALU_DEP_1)
	v_add_f32_e32 v10, v12, v5
	v_sub_f32_e32 v6, v10, v12
	v_mul_f32_e32 v11, v10, v10
	s_delay_alu instid0(VALU_DEP_2) | instskip(NEXT) | instid1(VALU_DEP_2)
	v_sub_f32_e32 v12, v5, v6
	v_fma_f32 v13, v10, v10, -v11
	s_delay_alu instid0(VALU_DEP_2) | instskip(NEXT) | instid1(VALU_DEP_1)
	v_add_f32_e32 v5, v12, v12
	v_fmac_f32_e32 v13, v10, v5
	v_cvt_f64_f32_e32 v[5:6], v9
	s_delay_alu instid0(VALU_DEP_2) | instskip(NEXT) | instid1(VALU_DEP_1)
	v_add_f32_e32 v14, v11, v13
	v_fmaak_f32 v15, s3, v14, 0x3e91f4c4
	v_sub_f32_e32 v11, v14, v11
	v_mul_f32_e32 v18, v10, v14
	s_delay_alu instid0(VALU_DEP_3) | instskip(NEXT) | instid1(VALU_DEP_3)
	v_fmaak_f32 v15, v14, v15, 0x3ecccdef
	v_sub_f32_e32 v11, v13, v11
	s_delay_alu instid0(VALU_DEP_2) | instskip(NEXT) | instid1(VALU_DEP_1)
	v_mul_f32_e32 v16, v14, v15
	v_fma_f32 v13, v14, v15, -v16
	s_delay_alu instid0(VALU_DEP_1) | instskip(NEXT) | instid1(VALU_DEP_1)
	v_fmac_f32_e32 v13, v11, v15
	v_add_f32_e32 v15, v16, v13
	v_frexp_exp_i32_f64_e32 v5, v[5:6]
	s_delay_alu instid0(VALU_DEP_2) | instskip(NEXT) | instid1(VALU_DEP_1)
	v_sub_f32_e32 v16, v15, v16
	v_sub_f32_e32 v6, v13, v16
	v_fma_f32 v16, v14, v10, -v18
	s_delay_alu instid0(VALU_DEP_2) | instskip(NEXT) | instid1(VALU_DEP_2)
	v_add_f32_e32 v6, 0x31739010, v6
	v_dual_add_f32 v17, 0x3f2aaaaa, v15 :: v_dual_fmac_f32 v16, v14, v12
	v_ldexp_f32 v12, v12, 1
	s_delay_alu instid0(VALU_DEP_2) | instskip(NEXT) | instid1(VALU_DEP_1)
	v_dual_add_f32 v13, 0xbf2aaaaa, v17 :: v_dual_fmac_f32 v16, v11, v10
	v_sub_f32_e32 v13, v15, v13
	s_delay_alu instid0(VALU_DEP_1) | instskip(NEXT) | instid1(VALU_DEP_3)
	v_add_f32_e32 v6, v6, v13
	v_add_f32_e32 v13, v18, v16
	s_delay_alu instid0(VALU_DEP_2) | instskip(NEXT) | instid1(VALU_DEP_1)
	v_add_f32_e32 v11, v17, v6
	v_sub_f32_e32 v14, v17, v11
	s_delay_alu instid0(VALU_DEP_3) | instskip(SKIP_2) | instid1(VALU_DEP_4)
	v_mul_f32_e32 v15, v13, v11
	v_sub_f32_e32 v17, v13, v18
	v_subrev_co_ci_u32_e64 v5, s2, 0, v5, s2
	v_add_f32_e32 v6, v6, v14
	s_delay_alu instid0(VALU_DEP_4) | instskip(NEXT) | instid1(VALU_DEP_4)
	v_fma_f32 v14, v13, v11, -v15
	v_sub_f32_e32 v16, v16, v17
	s_delay_alu instid0(VALU_DEP_4) | instskip(NEXT) | instid1(VALU_DEP_3)
	v_cvt_f32_i32_e32 v5, v5
	v_fmac_f32_e32 v14, v13, v6
	v_ldexp_f32 v6, v10, 1
	s_delay_alu instid0(VALU_DEP_2) | instskip(NEXT) | instid1(VALU_DEP_1)
	v_fmac_f32_e32 v14, v16, v11
	v_add_f32_e32 v10, v15, v14
	s_delay_alu instid0(VALU_DEP_1) | instskip(NEXT) | instid1(VALU_DEP_1)
	v_add_f32_e32 v11, v6, v10
	v_dual_sub_f32 v6, v11, v6 :: v_dual_sub_f32 v13, v10, v15
	s_delay_alu instid0(VALU_DEP_1) | instskip(NEXT) | instid1(VALU_DEP_2)
	v_sub_f32_e32 v6, v10, v6
	v_sub_f32_e32 v13, v14, v13
	s_delay_alu instid0(VALU_DEP_1) | instskip(NEXT) | instid1(VALU_DEP_1)
	v_add_f32_e32 v10, v12, v13
	v_dual_mul_f32 v15, 0x3f317218, v5 :: v_dual_add_f32 v6, v10, v6
	s_delay_alu instid0(VALU_DEP_1) | instskip(NEXT) | instid1(VALU_DEP_2)
	v_fma_f32 v14, 0x3f317218, v5, -v15
	v_add_f32_e32 v12, v11, v6
	s_delay_alu instid0(VALU_DEP_1) | instskip(NEXT) | instid1(VALU_DEP_1)
	v_sub_f32_e32 v11, v12, v11
	v_dual_fmamk_f32 v5, v5, 0xb102e308, v14 :: v_dual_sub_f32 v6, v6, v11
	s_delay_alu instid0(VALU_DEP_1) | instskip(NEXT) | instid1(VALU_DEP_1)
	v_add_f32_e32 v10, v15, v5
	v_add_f32_e32 v13, v10, v12
	s_delay_alu instid0(VALU_DEP_1) | instskip(NEXT) | instid1(VALU_DEP_1)
	v_dual_sub_f32 v15, v10, v15 :: v_dual_sub_f32 v14, v13, v10
	v_sub_f32_e32 v16, v13, v14
	s_delay_alu instid0(VALU_DEP_2) | instskip(NEXT) | instid1(VALU_DEP_2)
	v_sub_f32_e32 v5, v5, v15
	v_dual_sub_f32 v11, v12, v14 :: v_dual_sub_f32 v10, v10, v16
	s_delay_alu instid0(VALU_DEP_2) | instskip(NEXT) | instid1(VALU_DEP_2)
	v_add_f32_e32 v12, v5, v6
	v_add_f32_e32 v10, v11, v10
	s_delay_alu instid0(VALU_DEP_1) | instskip(NEXT) | instid1(VALU_DEP_1)
	v_add_f32_e32 v10, v12, v10
	v_dual_sub_f32 v11, v12, v5 :: v_dual_add_f32 v14, v13, v10
	s_delay_alu instid0(VALU_DEP_1) | instskip(SKIP_1) | instid1(VALU_DEP_3)
	v_sub_f32_e32 v12, v12, v11
	v_sub_f32_e32 v6, v6, v11
	;; [unrolled: 1-line block ×3, first 2 shown]
	s_delay_alu instid0(VALU_DEP_3) | instskip(NEXT) | instid1(VALU_DEP_1)
	v_sub_f32_e32 v5, v5, v12
	v_add_f32_e32 v5, v6, v5
	s_delay_alu instid0(VALU_DEP_3) | instskip(NEXT) | instid1(VALU_DEP_1)
	v_sub_f32_e32 v6, v10, v11
	v_add_f32_e32 v5, v5, v6
	s_delay_alu instid0(VALU_DEP_1) | instskip(NEXT) | instid1(VALU_DEP_1)
	v_add_f32_e32 v6, v14, v5
	v_mul_f32_e32 v11, v8, v6
	v_sub_f32_e32 v10, v6, v14
	s_delay_alu instid0(VALU_DEP_2) | instskip(NEXT) | instid1(VALU_DEP_2)
	v_fma_f32 v6, v8, v6, -v11
	v_sub_f32_e32 v5, v5, v10
	v_cmp_class_f32_e64 s2, v11, 0x204
	s_delay_alu instid0(VALU_DEP_2) | instskip(NEXT) | instid1(VALU_DEP_1)
	v_fmac_f32_e32 v6, v8, v5
	v_add_f32_e32 v5, v11, v6
	s_delay_alu instid0(VALU_DEP_1) | instskip(NEXT) | instid1(VALU_DEP_1)
	v_cndmask_b32_e64 v10, v5, v11, s2
	v_cmp_eq_f32_e64 s2, 0x42b17218, v10
	s_delay_alu instid0(VALU_DEP_1) | instskip(SKIP_1) | instid1(VALU_DEP_2)
	v_cndmask_b32_e64 v12, 0, 0x37000000, s2
	v_cmp_neq_f32_e64 s2, 0x7f800000, |v10|
	v_sub_f32_e32 v13, v10, v12
	v_trunc_f32_e32 v10, v8
	s_delay_alu instid0(VALU_DEP_2) | instskip(NEXT) | instid1(VALU_DEP_1)
	v_mul_f32_e32 v14, 0x3fb8aa3b, v13
	v_fma_f32 v15, 0x3fb8aa3b, v13, -v14
	v_rndne_f32_e32 v16, v14
	s_delay_alu instid0(VALU_DEP_1) | instskip(NEXT) | instid1(VALU_DEP_1)
	v_dual_fmamk_f32 v15, v13, 0x32a5705f, v15 :: v_dual_sub_f32 v14, v14, v16
	v_add_f32_e32 v14, v14, v15
	v_sub_f32_e32 v5, v5, v11
	v_cvt_i32_f32_e32 v11, v16
	s_delay_alu instid0(VALU_DEP_3) | instskip(NEXT) | instid1(VALU_DEP_2)
	v_exp_f32_e32 v14, v14
	v_sub_f32_e32 v5, v6, v5
	s_delay_alu instid0(VALU_DEP_1)
	v_cndmask_b32_e64 v5, 0, v5, s2
	v_cmp_ngt_f32_e64 s2, 0xc2ce8ed0, v13
	s_waitcnt_depctr 0xfff
	v_ldexp_f32 v6, v14, v11
	v_mul_f32_e32 v11, 0.5, v8
	v_add_f32_e32 v5, v12, v5
	s_delay_alu instid0(VALU_DEP_3) | instskip(NEXT) | instid1(VALU_DEP_3)
	v_cndmask_b32_e64 v6, 0, v6, s2
	v_trunc_f32_e32 v14, v11
	v_cmp_nlt_f32_e64 s2, 0x42b17218, v13
	s_delay_alu instid0(VALU_DEP_2) | instskip(NEXT) | instid1(VALU_DEP_2)
	v_cmp_neq_f32_e64 s3, v14, v11
	v_cndmask_b32_e64 v6, 0x7f800000, v6, s2
	v_cmp_eq_f32_e64 s2, v10, v8
	s_delay_alu instid0(VALU_DEP_2) | instskip(NEXT) | instid1(VALU_DEP_2)
	v_fma_f32 v5, v6, v5, v6
	s_and_b32 vcc_lo, s2, s3
	v_cmp_class_f32_e64 s3, v6, 0x204
	v_cndmask_b32_e32 v10, 1.0, v7, vcc_lo
	s_delay_alu instid0(VALU_DEP_2) | instskip(SKIP_1) | instid1(VALU_DEP_2)
	v_cndmask_b32_e64 v5, v5, v6, s3
	v_cmp_gt_f32_e64 s3, 0, v8
	v_bfi_b32 v5, 0x7fffffff, v5, v10
	v_cndmask_b32_e32 v10, 0, v7, vcc_lo
	s_delay_alu instid0(VALU_DEP_3)
	s_xor_b32 s3, s3, s4
	v_cmp_eq_f32_e32 vcc_lo, 0x7f800000, v9
	v_cndmask_b32_e64 v6, 0x7f800000, 0, s3
	v_cndmask_b32_e64 v8, 0x7fc00000, v5, s2
	v_cmp_gt_f32_e64 s2, 0, v7
	s_or_b32 vcc_lo, vcc_lo, s4
	s_delay_alu instid0(VALU_DEP_3) | instskip(NEXT) | instid1(VALU_DEP_2)
	v_bfi_b32 v6, 0x7fffffff, v6, v10
	v_cndmask_b32_e64 v5, v5, v8, s2
	s_delay_alu instid0(VALU_DEP_1) | instskip(SKIP_1) | instid1(VALU_DEP_2)
	v_cndmask_b32_e32 v5, v5, v6, vcc_lo
	v_cmp_o_f32_e32 vcc_lo, v7, v7
	v_cndmask_b32_e32 v5, 0x7fc00000, v5, vcc_lo
.LBB13_8:
	s_load_b256 s[36:43], s[0:1], 0x0
	s_load_b32 s2, s[6:7], 0xc
	s_waitcnt lgkmcnt(0)
	s_cmp_lg_u64 s[40:41], 0
	s_cselect_b32 s34, -1, 0
	s_cmp_eq_u64 s[40:41], 0
	s_cbranch_scc1 .LBB13_12
; %bb.9:
	s_lshl_b64 s[4:5], s[18:19], 2
	s_delay_alu instid0(SALU_CYCLE_1)
	s_add_u32 s4, s40, s4
	s_addc_u32 s5, s41, s5
	s_load_b32 s3, s[4:5], 0x0
	s_branch .LBB13_13
.LBB13_10:
                                        ; implicit-def: $vgpr1_vgpr2
	s_branch .LBB13_2
.LBB13_11:
                                        ; implicit-def: $vgpr3_vgpr4
	s_branch .LBB13_5
.LBB13_12:
	s_mov_b32 s3, 0xff800000
.LBB13_13:
	s_mul_i32 s4, s11, s15
	s_bfe_i64 s[28:29], s[26:27], 0x200000
	s_add_i32 s4, s4, s18
	s_and_b32 s17, 0xffff, s2
	s_mul_i32 s27, s4, s10
	s_waitcnt lgkmcnt(0)
	v_mov_b32_e32 v6, s3
	s_add_i32 s27, s27, s13
	s_cmp_gt_i32 s26, 0
	s_mov_b32 s4, 0
	s_cselect_b32 s29, -1, 0
	s_cmp_lt_i32 s26, 1
	s_cbranch_scc1 .LBB13_21
; %bb.14:
	v_mul_lo_u32 v6, v1, s23
	v_mul_hi_u32 v7, v1, s22
	v_mul_lo_u32 v8, v3, s25
	v_mul_hi_u32 v9, v3, s24
	v_mul_lo_u32 v2, v2, s22
	v_mul_lo_u32 v1, v1, s22
	;; [unrolled: 1-line block ×4, first 2 shown]
	s_mul_i32 s2, s21, s13
	v_add_nc_u32_e32 v6, v7, v6
	s_mul_hi_u32 s5, s20, s13
	v_add_nc_u32_e32 v7, v9, v8
	s_mul_i32 s6, s20, s13
	s_add_i32 s5, s5, s2
	v_add_nc_u32_e32 v2, v6, v2
	v_mov_b32_e32 v6, s3
	v_add_co_u32 v1, vcc_lo, v1, s6
	v_add_nc_u32_e32 v4, v7, v4
	s_delay_alu instid0(VALU_DEP_4) | instskip(NEXT) | instid1(VALU_DEP_3)
	v_add_co_ci_u32_e32 v2, vcc_lo, s5, v2, vcc_lo
	v_add_co_u32 v1, vcc_lo, v1, v3
	s_cmp_lg_u64 s[38:39], 0
	s_delay_alu instid0(VALU_DEP_2) | instskip(SKIP_3) | instid1(VALU_DEP_3)
	v_add_co_ci_u32_e32 v2, vcc_lo, v2, v4, vcc_lo
	s_cselect_b32 s2, -1, 0
	v_lshlrev_b32_e32 v3, 2, v0
	v_lshlrev_b32_e32 v7, 1, v0
	v_lshrrev_b64 v[1:2], 1, v[1:2]
	s_mul_hi_i32 s7, s27, s28
	s_mul_i32 s6, s27, s28
	s_lshl_b32 s5, s17, 2
	s_lshl_b64 s[6:7], s[6:7], 2
	s_delay_alu instid0(VALU_DEP_1) | instskip(SKIP_2) | instid1(VALU_DEP_1)
	v_cndmask_b32_e64 v2, 0, v2, s2
	v_cndmask_b32_e64 v1, 0, v1, s2
	v_add_co_u32 v3, s3, s6, v3
	v_add_co_ci_u32_e64 v4, null, s7, 0, s3
	s_delay_alu instid0(VALU_DEP_3) | instskip(SKIP_2) | instid1(VALU_DEP_1)
	v_lshlrev_b64 v[1:2], 1, v[1:2]
	s_lshl_b32 s6, s17, 1
	s_mov_b32 s7, 0
	v_add_co_u32 v1, vcc_lo, s38, v1
	s_delay_alu instid0(VALU_DEP_2) | instskip(NEXT) | instid1(VALU_DEP_2)
	v_add_co_ci_u32_e32 v2, vcc_lo, s39, v2, vcc_lo
	v_add_co_u32 v1, vcc_lo, v1, v7
	s_delay_alu instid0(VALU_DEP_2)
	v_add_co_ci_u32_e32 v2, vcc_lo, 0, v2, vcc_lo
	s_set_inst_prefetch_distance 0x1
	s_branch .LBB13_17
	.p2align	6
.LBB13_15:                              ;   in Loop: Header=BB13_17 Depth=1
	s_waitcnt vmcnt(0)
	s_delay_alu instid0(VALU_DEP_1) | instskip(SKIP_2) | instid1(VALU_DEP_3)
	v_dual_fmac_f32 v7, s8, v8 :: v_dual_max_f32 v6, v6, v6
	v_add_co_u32 v8, vcc_lo, s42, v3
	v_add_co_ci_u32_e32 v9, vcc_lo, s43, v4, vcc_lo
	v_max_f32_e32 v6, v6, v7
	global_store_b32 v[8:9], v7, off
.LBB13_16:                              ;   in Loop: Header=BB13_17 Depth=1
	s_or_b32 exec_lo, exec_lo, s9
	s_add_i32 s7, s7, s17
	v_add_co_u32 v3, vcc_lo, v3, s5
	s_cmp_ge_i32 s7, s26
	v_add_co_ci_u32_e32 v4, vcc_lo, 0, v4, vcc_lo
	s_cselect_b32 s9, -1, 0
	s_xor_b32 s3, s3, -1
	v_add_co_u32 v1, vcc_lo, v1, s6
	s_or_b32 s3, s3, s9
	v_add_co_ci_u32_e32 v2, vcc_lo, 0, v2, vcc_lo
	s_and_b32 s3, exec_lo, s3
	s_delay_alu instid0(SALU_CYCLE_1) | instskip(NEXT) | instid1(SALU_CYCLE_1)
	s_or_b32 s4, s3, s4
	s_and_not1_b32 exec_lo, exec_lo, s4
	s_cbranch_execz .LBB13_20
.LBB13_17:                              ; =>This Inner Loop Header: Depth=1
	v_add_nc_u32_e32 v7, s7, v0
	s_delay_alu instid0(VALU_DEP_1) | instskip(NEXT) | instid1(VALU_DEP_1)
	v_cmp_gt_i32_e64 s3, s26, v7
	s_and_saveexec_b32 s9, s3
	s_cbranch_execz .LBB13_16
; %bb.18:                               ;   in Loop: Header=BB13_17 Depth=1
	v_add_co_u32 v7, vcc_lo, s36, v3
	v_add_co_ci_u32_e32 v8, vcc_lo, s37, v4, vcc_lo
	s_and_not1_b32 vcc_lo, exec_lo, s2
	global_load_b32 v8, v[7:8], off
	v_mov_b32_e32 v7, 0
	s_cbranch_vccnz .LBB13_15
; %bb.19:                               ;   in Loop: Header=BB13_17 Depth=1
	global_load_u16 v7, v[1:2], off
	s_waitcnt vmcnt(0)
	v_cvt_f32_f16_e32 v7, v7
	s_delay_alu instid0(VALU_DEP_1)
	v_mul_f32_e32 v7, v5, v7
	s_branch .LBB13_15
.LBB13_20:
	s_set_inst_prefetch_distance 0x2
	s_or_b32 exec_lo, exec_lo, s4
.LBB13_21:
	v_mbcnt_lo_u32_b32 v1, -1, 0
	s_cmp_gt_u32 s17, 32
	s_mov_b32 s22, 0
	s_cselect_b32 s23, -1, 0
	s_cmp_lt_u32 s17, 33
	v_xor_b32_e32 v2, 16, v1
	v_xor_b32_e32 v3, 8, v1
	s_mov_b32 s24, -1
	s_delay_alu instid0(VALU_DEP_2) | instskip(SKIP_1) | instid1(VALU_DEP_3)
	v_cmp_gt_i32_e32 vcc_lo, 32, v2
	v_cndmask_b32_e32 v2, v1, v2, vcc_lo
	v_cmp_gt_i32_e32 vcc_lo, 32, v3
	v_max_f32_e32 v4, v6, v6
	s_delay_alu instid0(VALU_DEP_3) | instskip(SKIP_4) | instid1(VALU_DEP_1)
	v_lshlrev_b32_e32 v41, 2, v2
	v_cndmask_b32_e32 v3, v1, v3, vcc_lo
	ds_bpermute_b32 v2, v41, v6
	s_waitcnt lgkmcnt(0)
	v_max_f32_e32 v2, v2, v2
	v_max_f32_e32 v2, v4, v2
	v_xor_b32_e32 v4, 4, v1
	s_delay_alu instid0(VALU_DEP_1) | instskip(SKIP_1) | instid1(VALU_DEP_1)
	v_cmp_gt_i32_e32 vcc_lo, 32, v4
	v_cndmask_b32_e32 v4, v1, v4, vcc_lo
	v_lshlrev_b32_e32 v43, 2, v4
	v_xor_b32_e32 v4, 2, v1
	s_delay_alu instid0(VALU_DEP_1) | instskip(SKIP_1) | instid1(VALU_DEP_1)
	v_cmp_gt_i32_e32 vcc_lo, 32, v4
	v_cndmask_b32_e32 v4, v1, v4, vcc_lo
	v_lshlrev_b32_e32 v44, 2, v4
	v_xor_b32_e32 v4, 1, v1
	s_delay_alu instid0(VALU_DEP_1)
	v_cmp_gt_i32_e32 vcc_lo, 32, v4
	v_dual_cndmask_b32 v1, v1, v4 :: v_dual_lshlrev_b32 v42, 2, v3
	ds_bpermute_b32 v3, v42, v2
	v_lshlrev_b32_e32 v45, 2, v1
	s_waitcnt lgkmcnt(0)
	v_max_f32_e32 v3, v3, v3
	s_delay_alu instid0(VALU_DEP_1) | instskip(SKIP_3) | instid1(VALU_DEP_1)
	v_max_f32_e32 v2, v2, v3
	ds_bpermute_b32 v3, v43, v2
	s_waitcnt lgkmcnt(0)
	v_max_f32_e32 v3, v3, v3
	v_max_f32_e32 v2, v2, v3
	ds_bpermute_b32 v3, v44, v2
	s_waitcnt lgkmcnt(0)
	v_max_f32_e32 v3, v3, v3
	s_delay_alu instid0(VALU_DEP_1) | instskip(SKIP_3) | instid1(VALU_DEP_1)
	v_max_f32_e32 v2, v2, v3
	ds_bpermute_b32 v1, v45, v2
	s_waitcnt lgkmcnt(0)
	v_max_f32_e32 v1, v1, v1
	v_max_f32_e32 v46, v2, v1
	s_cbranch_scc1 .LBB13_30
; %bb.22:
	s_cmpk_gt_u32 s17, 0x400
	s_mov_b32 s24, 0
	s_cselect_b32 s2, -1, 0
	s_and_b32 s3, s17, 31
	s_delay_alu instid0(SALU_CYCLE_1) | instskip(SKIP_1) | instid1(SALU_CYCLE_1)
	s_cmp_lg_u32 s3, 0
	s_cselect_b32 s3, -1, 0
	s_or_b32 s3, s2, s3
	s_mov_b32 s2, -1
	s_and_b32 vcc_lo, exec_lo, s3
	s_mov_b32 s3, 0
	s_cbranch_vccz .LBB13_24
; %bb.23:
	s_add_u32 s8, s0, 0xa0
	s_addc_u32 s9, s1, 0
	s_getpc_b64 s[2:3]
	s_add_u32 s2, s2, .str.2@rel32@lo+4
	s_addc_u32 s3, s3, .str.2@rel32@hi+12
	s_getpc_b64 s[4:5]
	s_add_u32 s4, s4, .str.3@rel32@lo+4
	s_addc_u32 s5, s5, .str.3@rel32@hi+12
	s_getpc_b64 s[6:7]
	s_add_u32 s6, s6, __PRETTY_FUNCTION__._ZL12block_reduceIL19block_reduce_method0ELj0EfET1_S1_PS1_@rel32@lo+4
	s_addc_u32 s7, s7, __PRETTY_FUNCTION__._ZL12block_reduceIL19block_reduce_method0ELj0EfET1_S1_PS1_@rel32@hi+12
	v_dual_mov_b32 v47, v0 :: v_dual_mov_b32 v0, s2
	v_dual_mov_b32 v1, s3 :: v_dual_mov_b32 v2, s4
	;; [unrolled: 1-line block ×4, first 2 shown]
	s_getpc_b64 s[10:11]
	s_add_u32 s10, s10, __assert_fail@rel32@lo+4
	s_addc_u32 s11, s11, __assert_fail@rel32@hi+12
	s_mov_b64 s[20:21], s[0:1]
	s_swappc_b64 s[30:31], s[10:11]
	v_mov_b32_e32 v0, v47
	s_mov_b64 s[0:1], s[20:21]
	s_mov_b32 s2, 0
	s_mov_b32 s3, -1
.LBB13_24:
	s_and_not1_b32 vcc_lo, exec_lo, s2
	s_cbranch_vccnz .LBB13_37
; %bb.25:
	v_and_b32_e32 v1, 31, v0
	s_mov_b32 s2, exec_lo
	s_delay_alu instid0(VALU_DEP_1)
	v_cmpx_eq_u32_e32 0, v1
	s_cbranch_execz .LBB13_27
; %bb.26:
	v_lshrrev_b32_e32 v2, 3, v0
	s_delay_alu instid0(VALU_DEP_1)
	v_add_nc_u32_e32 v2, 0, v2
	ds_store_b32 v2, v46
.LBB13_27:
	s_or_b32 exec_lo, exec_lo, s2
	s_lshr_b32 s2, s17, 5
	v_mov_b32_e32 v2, 0xff800000
	v_cmp_gt_u32_e32 vcc_lo, s2, v1
	s_waitcnt lgkmcnt(0)
	s_waitcnt_vscnt null, 0x0
	s_barrier
	buffer_gl0_inv
	s_and_saveexec_b32 s2, vcc_lo
	s_cbranch_execz .LBB13_29
; %bb.28:
	v_lshl_add_u32 v1, v1, 2, 0
	ds_load_b32 v2, v1
.LBB13_29:
	s_or_b32 exec_lo, exec_lo, s2
	s_waitcnt lgkmcnt(0)
	ds_bpermute_b32 v1, v41, v2
	s_waitcnt lgkmcnt(0)
	v_dual_max_f32 v2, v2, v2 :: v_dual_max_f32 v1, v1, v1
	s_delay_alu instid0(VALU_DEP_1) | instskip(SKIP_3) | instid1(VALU_DEP_1)
	v_max_f32_e32 v1, v2, v1
	ds_bpermute_b32 v2, v42, v1
	s_waitcnt lgkmcnt(0)
	v_max_f32_e32 v2, v2, v2
	v_max_f32_e32 v1, v1, v2
	ds_bpermute_b32 v2, v43, v1
	s_waitcnt lgkmcnt(0)
	v_max_f32_e32 v2, v2, v2
	s_delay_alu instid0(VALU_DEP_1) | instskip(SKIP_3) | instid1(VALU_DEP_1)
	v_max_f32_e32 v1, v1, v2
	ds_bpermute_b32 v2, v44, v1
	s_waitcnt lgkmcnt(0)
	v_max_f32_e32 v2, v2, v2
	v_max_f32_e32 v1, v1, v2
	ds_bpermute_b32 v2, v45, v1
	s_waitcnt lgkmcnt(0)
	v_max_f32_e32 v2, v2, v2
	s_delay_alu instid0(VALU_DEP_1)
	v_max_f32_e32 v46, v1, v2
	s_cbranch_execnz .LBB13_31
	s_branch .LBB13_38
.LBB13_30:
	s_mov_b32 s3, 0
	s_and_b32 vcc_lo, exec_lo, s24
	s_cbranch_vccz .LBB13_38
.LBB13_31:
	s_and_not1_b32 vcc_lo, exec_lo, s29
	s_cbranch_vccnz .LBB13_39
; %bb.32:
	s_mul_hi_i32 s5, s27, s28
	s_mul_i32 s4, s27, s28
	v_lshlrev_b32_e32 v1, 2, v0
	s_lshl_b64 s[4:5], s[4:5], 2
	v_mov_b32_e32 v3, 0
	s_add_u32 s2, s42, s4
	s_addc_u32 s4, s43, s5
	v_add_co_u32 v1, s2, s2, v1
	s_delay_alu instid0(VALU_DEP_1)
	v_add_co_ci_u32_e64 v2, null, s4, 0, s2
	s_mov_b32 s4, 0
	s_lshl_b32 s5, s17, 2
	s_mov_b32 s6, 0
	s_branch .LBB13_34
.LBB13_33:                              ;   in Loop: Header=BB13_34 Depth=1
	s_or_b32 exec_lo, exec_lo, s7
	s_add_i32 s6, s6, s17
	s_delay_alu instid0(SALU_CYCLE_1)
	s_cmp_ge_i32 s6, s26
	s_cselect_b32 s2, -1, 0
	s_xor_b32 s7, vcc_lo, -1
	v_add_co_u32 v1, vcc_lo, v1, s5
	s_or_b32 s2, s7, s2
	v_add_co_ci_u32_e32 v2, vcc_lo, 0, v2, vcc_lo
	s_and_b32 s2, exec_lo, s2
	s_delay_alu instid0(SALU_CYCLE_1) | instskip(NEXT) | instid1(SALU_CYCLE_1)
	s_or_b32 s4, s2, s4
	s_and_not1_b32 exec_lo, exec_lo, s4
	s_cbranch_execz .LBB13_36
.LBB13_34:                              ; =>This Inner Loop Header: Depth=1
	v_add_nc_u32_e32 v4, s6, v0
	s_delay_alu instid0(VALU_DEP_1)
	v_cmp_gt_i32_e32 vcc_lo, s26, v4
	s_and_saveexec_b32 s7, vcc_lo
	s_cbranch_execz .LBB13_33
; %bb.35:                               ;   in Loop: Header=BB13_34 Depth=1
	global_load_b32 v4, v[1:2], off
	s_waitcnt vmcnt(0)
	v_sub_f32_e32 v4, v4, v46
	s_delay_alu instid0(VALU_DEP_1) | instskip(NEXT) | instid1(VALU_DEP_1)
	v_mul_f32_e32 v5, 0x3fb8aa3b, v4
	v_fma_f32 v6, 0x3fb8aa3b, v4, -v5
	v_rndne_f32_e32 v7, v5
	s_delay_alu instid0(VALU_DEP_1) | instskip(SKIP_1) | instid1(VALU_DEP_2)
	v_dual_sub_f32 v5, v5, v7 :: v_dual_fmac_f32 v6, 0x32a5705f, v4
	v_cmp_ngt_f32_e64 s2, 0xc2ce8ed0, v4
	v_add_f32_e32 v5, v5, v6
	v_cvt_i32_f32_e32 v6, v7
	s_delay_alu instid0(VALU_DEP_2) | instskip(SKIP_2) | instid1(VALU_DEP_1)
	v_exp_f32_e32 v5, v5
	s_waitcnt_depctr 0xfff
	v_ldexp_f32 v5, v5, v6
	v_cndmask_b32_e64 v5, 0, v5, s2
	v_cmp_nlt_f32_e64 s2, 0x42b17218, v4
	s_delay_alu instid0(VALU_DEP_1) | instskip(NEXT) | instid1(VALU_DEP_1)
	v_cndmask_b32_e64 v4, 0x7f800000, v5, s2
	v_add_f32_e32 v3, v3, v4
	global_store_b32 v[1:2], v4, off
	s_branch .LBB13_33
.LBB13_36:
	s_or_b32 exec_lo, exec_lo, s4
	s_branch .LBB13_40
.LBB13_37:
                                        ; implicit-def: $vgpr46
	s_and_b32 vcc_lo, exec_lo, s24
	s_cbranch_vccnz .LBB13_31
.LBB13_38:
	s_mov_b32 s2, 0
                                        ; implicit-def: $vgpr47
	s_branch .LBB13_44
.LBB13_39:
	v_mov_b32_e32 v3, 0
.LBB13_40:
	ds_bpermute_b32 v1, v41, v3
	s_and_not1_b32 vcc_lo, exec_lo, s23
	s_waitcnt lgkmcnt(0)
	v_add_f32_e32 v1, v3, v1
	ds_bpermute_b32 v2, v42, v1
	s_waitcnt lgkmcnt(0)
	v_add_f32_e32 v1, v1, v2
	ds_bpermute_b32 v2, v43, v1
	;; [unrolled: 3-line block ×4, first 2 shown]
	s_waitcnt lgkmcnt(0)
	v_add_f32_e32 v47, v1, v2
	s_cbranch_vccnz .LBB13_43
; %bb.41:
	s_cmpk_gt_u32 s17, 0x400
	s_mov_b32 s22, 0
	s_cselect_b32 s2, -1, 0
	s_and_b32 s4, s17, 31
	s_delay_alu instid0(SALU_CYCLE_1) | instskip(SKIP_1) | instid1(SALU_CYCLE_1)
	s_cmp_lg_u32 s4, 0
	s_cselect_b32 s4, -1, 0
	s_or_b32 s2, s2, s4
	s_delay_alu instid0(SALU_CYCLE_1)
	s_and_b32 vcc_lo, exec_lo, s2
	s_mov_b32 s2, -1
	s_cbranch_vccz .LBB13_44
; %bb.42:
	s_add_u32 s8, s0, 0xa0
	s_addc_u32 s9, s1, 0
	s_getpc_b64 s[0:1]
	s_add_u32 s0, s0, .str.2@rel32@lo+4
	s_addc_u32 s1, s1, .str.2@rel32@hi+12
	s_getpc_b64 s[2:3]
	s_add_u32 s2, s2, .str.3@rel32@lo+4
	s_addc_u32 s3, s3, .str.3@rel32@hi+12
	s_getpc_b64 s[4:5]
	s_add_u32 s4, s4, __PRETTY_FUNCTION__._ZL12block_reduceIL19block_reduce_method1ELj0EfET1_S1_PS1_@rel32@lo+4
	s_addc_u32 s5, s5, __PRETTY_FUNCTION__._ZL12block_reduceIL19block_reduce_method1ELj0EfET1_S1_PS1_@rel32@hi+12
	v_dual_mov_b32 v53, v0 :: v_dual_mov_b32 v0, s0
	v_dual_mov_b32 v1, s1 :: v_dual_mov_b32 v2, s2
	;; [unrolled: 1-line block ×4, first 2 shown]
	s_getpc_b64 s[6:7]
	s_add_u32 s6, s6, __assert_fail@rel32@lo+4
	s_addc_u32 s7, s7, __assert_fail@rel32@hi+12
	s_delay_alu instid0(SALU_CYCLE_1)
	s_swappc_b64 s[30:31], s[6:7]
	v_mov_b32_e32 v0, v53
	s_mov_b32 s3, -1
	s_mov_b32 s2, 0
	s_branch .LBB13_44
.LBB13_43:
	s_mov_b32 s2, 0
	s_mov_b32 s22, -1
.LBB13_44:
	s_and_b32 vcc_lo, exec_lo, s3
	s_cbranch_vccnz .LBB13_47
; %bb.45:
	s_and_not1_b32 vcc_lo, exec_lo, s2
	s_cbranch_vccz .LBB13_48
.LBB13_46:
	s_and_b32 vcc_lo, exec_lo, s22
	s_cbranch_vccnz .LBB13_53
	s_branch .LBB13_60
.LBB13_47:
	; divergent unreachable
	s_and_not1_b32 vcc_lo, exec_lo, s2
	s_cbranch_vccnz .LBB13_46
.LBB13_48:
	v_and_b32_e32 v1, 31, v0
	s_mov_b32 s0, exec_lo
	s_delay_alu instid0(VALU_DEP_1)
	v_cmpx_eq_u32_e32 0, v1
	s_cbranch_execz .LBB13_50
; %bb.49:
	v_lshrrev_b32_e32 v2, 3, v0
	s_delay_alu instid0(VALU_DEP_1)
	v_add_nc_u32_e32 v2, 0, v2
	ds_store_b32 v2, v47
.LBB13_50:
	s_or_b32 exec_lo, exec_lo, s0
	s_lshr_b32 s0, s17, 5
	v_mov_b32_e32 v2, 0
	v_cmp_gt_u32_e32 vcc_lo, s0, v1
	s_waitcnt lgkmcnt(0)
	s_waitcnt_vscnt null, 0x0
	s_barrier
	buffer_gl0_inv
	s_and_saveexec_b32 s0, vcc_lo
	s_cbranch_execz .LBB13_52
; %bb.51:
	v_lshl_add_u32 v1, v1, 2, 0
	ds_load_b32 v2, v1
.LBB13_52:
	s_or_b32 exec_lo, exec_lo, s0
	s_waitcnt lgkmcnt(0)
	ds_bpermute_b32 v1, v41, v2
	s_waitcnt lgkmcnt(0)
	v_add_f32_e32 v1, v2, v1
	ds_bpermute_b32 v2, v42, v1
	s_waitcnt lgkmcnt(0)
	v_add_f32_e32 v1, v1, v2
	;; [unrolled: 3-line block ×5, first 2 shown]
	s_cbranch_execz .LBB13_60
.LBB13_53:
	s_and_not1_b32 vcc_lo, exec_lo, s34
	s_cbranch_vccnz .LBB13_55
; %bb.54:
	s_lshl_b64 s[0:1], s[18:19], 2
	v_mov_b32_e32 v1, 0
	s_add_u32 s0, s40, s0
	s_addc_u32 s1, s41, s1
	global_load_b32 v1, v1, s[0:1]
	s_waitcnt vmcnt(0)
	v_sub_f32_e32 v1, v1, v46
	s_delay_alu instid0(VALU_DEP_1) | instskip(NEXT) | instid1(VALU_DEP_1)
	v_mul_f32_e32 v2, 0x3fb8aa3b, v1
	v_fma_f32 v3, 0x3fb8aa3b, v1, -v2
	v_rndne_f32_e32 v4, v2
	s_delay_alu instid0(VALU_DEP_1) | instskip(NEXT) | instid1(VALU_DEP_1)
	v_dual_fmamk_f32 v3, v1, 0x32a5705f, v3 :: v_dual_sub_f32 v2, v2, v4
	v_add_f32_e32 v2, v2, v3
	v_cvt_i32_f32_e32 v3, v4
	v_cmp_ngt_f32_e32 vcc_lo, 0xc2ce8ed0, v1
	s_delay_alu instid0(VALU_DEP_3) | instskip(SKIP_2) | instid1(VALU_DEP_1)
	v_exp_f32_e32 v2, v2
	s_waitcnt_depctr 0xfff
	v_ldexp_f32 v2, v2, v3
	v_cndmask_b32_e32 v2, 0, v2, vcc_lo
	v_cmp_nlt_f32_e32 vcc_lo, 0x42b17218, v1
	s_delay_alu instid0(VALU_DEP_2) | instskip(NEXT) | instid1(VALU_DEP_1)
	v_cndmask_b32_e32 v1, 0x7f800000, v2, vcc_lo
	v_add_f32_e32 v47, v47, v1
.LBB13_55:
	s_and_not1_b32 vcc_lo, exec_lo, s29
	s_cbranch_vccnz .LBB13_60
; %bb.56:
	s_delay_alu instid0(VALU_DEP_1) | instskip(SKIP_2) | instid1(VALU_DEP_2)
	v_div_scale_f32 v1, null, v47, v47, 1.0
	v_div_scale_f32 v4, vcc_lo, 1.0, v47, 1.0
	s_mul_hi_i32 s1, s27, s28
	v_rcp_f32_e32 v2, v1
	s_mul_i32 s0, s27, s28
	s_mov_b32 s2, 0
	s_lshl_b64 s[0:1], s[0:1], 2
                                        ; implicit-def: $sgpr3
	s_delay_alu instid0(SALU_CYCLE_1) | instskip(SKIP_3) | instid1(VALU_DEP_1)
	s_add_u32 s0, s42, s0
	s_addc_u32 s1, s43, s1
	s_waitcnt_depctr 0xfff
	v_fma_f32 v3, -v1, v2, 1.0
	v_fmac_f32_e32 v2, v3, v2
	s_delay_alu instid0(VALU_DEP_1) | instskip(NEXT) | instid1(VALU_DEP_1)
	v_mul_f32_e32 v3, v4, v2
	v_fma_f32 v5, -v1, v3, v4
	s_delay_alu instid0(VALU_DEP_1) | instskip(NEXT) | instid1(VALU_DEP_1)
	v_fmac_f32_e32 v3, v5, v2
	v_fma_f32 v1, -v1, v3, v4
	s_delay_alu instid0(VALU_DEP_1) | instskip(SKIP_1) | instid1(VALU_DEP_2)
	v_div_fmas_f32 v1, v1, v2, v3
	v_lshlrev_b32_e32 v2, 2, v0
	v_div_fixup_f32 v3, v1, v47, 1.0
	s_delay_alu instid0(VALU_DEP_2) | instskip(NEXT) | instid1(VALU_DEP_1)
	v_add_co_u32 v1, s0, s0, v2
	v_add_co_ci_u32_e64 v2, null, s1, 0, s0
	s_mov_b32 s0, 0
	s_lshl_b32 s1, s17, 2
	s_set_inst_prefetch_distance 0x1
	s_branch .LBB13_58
	.p2align	6
.LBB13_57:                              ;   in Loop: Header=BB13_58 Depth=1
	s_or_b32 exec_lo, exec_lo, s4
	s_delay_alu instid0(SALU_CYCLE_1) | instskip(NEXT) | instid1(SALU_CYCLE_1)
	s_and_b32 s4, exec_lo, s3
	s_or_b32 s0, s4, s0
	s_delay_alu instid0(SALU_CYCLE_1)
	s_and_not1_b32 exec_lo, exec_lo, s0
	s_cbranch_execz .LBB13_60
.LBB13_58:                              ; =>This Inner Loop Header: Depth=1
	v_add_nc_u32_e32 v4, s2, v0
	s_or_b32 s3, s3, exec_lo
	s_mov_b32 s4, exec_lo
	s_delay_alu instid0(VALU_DEP_1)
	v_cmpx_gt_i32_e64 s26, v4
	s_cbranch_execz .LBB13_57
; %bb.59:                               ;   in Loop: Header=BB13_58 Depth=1
	global_load_b32 v4, v[1:2], off
	s_add_i32 s2, s2, s17
	s_delay_alu instid0(SALU_CYCLE_1) | instskip(SKIP_3) | instid1(SALU_CYCLE_1)
	s_cmp_ge_i32 s2, s26
	s_cselect_b32 s5, -1, 0
	s_and_not1_b32 s3, s3, exec_lo
	s_and_b32 s5, s5, exec_lo
	s_or_b32 s3, s3, s5
	s_waitcnt vmcnt(0)
	v_mul_f32_e32 v4, v3, v4
	global_store_b32 v[1:2], v4, off
	v_add_co_u32 v1, vcc_lo, v1, s1
	v_add_co_ci_u32_e32 v2, vcc_lo, 0, v2, vcc_lo
	s_branch .LBB13_57
.LBB13_60:
	s_set_inst_prefetch_distance 0x2
	s_endpgm
	.section	.rodata,"a",@progbits
	.p2align	6, 0x0
	.amdhsa_kernel _ZL12soft_max_f32ILb0ELi0ELi0E6__halfEvPKfPKT2_S2_Pf15soft_max_params
		.amdhsa_group_segment_fixed_size 0
		.amdhsa_private_segment_fixed_size 64
		.amdhsa_kernarg_size 416
		.amdhsa_user_sgpr_count 13
		.amdhsa_user_sgpr_dispatch_ptr 0
		.amdhsa_user_sgpr_queue_ptr 0
		.amdhsa_user_sgpr_kernarg_segment_ptr 1
		.amdhsa_user_sgpr_dispatch_id 0
		.amdhsa_user_sgpr_private_segment_size 0
		.amdhsa_wavefront_size32 1
		.amdhsa_uses_dynamic_stack 0
		.amdhsa_enable_private_segment 1
		.amdhsa_system_sgpr_workgroup_id_x 1
		.amdhsa_system_sgpr_workgroup_id_y 1
		.amdhsa_system_sgpr_workgroup_id_z 1
		.amdhsa_system_sgpr_workgroup_info 0
		.amdhsa_system_vgpr_workitem_id 0
		.amdhsa_next_free_vgpr 54
		.amdhsa_next_free_sgpr 44
		.amdhsa_reserve_vcc 1
		.amdhsa_float_round_mode_32 0
		.amdhsa_float_round_mode_16_64 0
		.amdhsa_float_denorm_mode_32 3
		.amdhsa_float_denorm_mode_16_64 3
		.amdhsa_dx10_clamp 1
		.amdhsa_ieee_mode 1
		.amdhsa_fp16_overflow 0
		.amdhsa_workgroup_processor_mode 1
		.amdhsa_memory_ordered 1
		.amdhsa_forward_progress 0
		.amdhsa_shared_vgpr_count 0
		.amdhsa_exception_fp_ieee_invalid_op 0
		.amdhsa_exception_fp_denorm_src 0
		.amdhsa_exception_fp_ieee_div_zero 0
		.amdhsa_exception_fp_ieee_overflow 0
		.amdhsa_exception_fp_ieee_underflow 0
		.amdhsa_exception_fp_ieee_inexact 0
		.amdhsa_exception_int_div_zero 0
	.end_amdhsa_kernel
	.section	.text._ZL12soft_max_f32ILb0ELi0ELi0E6__halfEvPKfPKT2_S2_Pf15soft_max_params,"axG",@progbits,_ZL12soft_max_f32ILb0ELi0ELi0E6__halfEvPKfPKT2_S2_Pf15soft_max_params,comdat
.Lfunc_end13:
	.size	_ZL12soft_max_f32ILb0ELi0ELi0E6__halfEvPKfPKT2_S2_Pf15soft_max_params, .Lfunc_end13-_ZL12soft_max_f32ILb0ELi0ELi0E6__halfEvPKfPKT2_S2_Pf15soft_max_params
                                        ; -- End function
	.section	.AMDGPU.csdata,"",@progbits
; Kernel info:
; codeLenInByte = 5428
; NumSgprs: 46
; NumVgprs: 54
; ScratchSize: 64
; MemoryBound: 0
; FloatMode: 240
; IeeeMode: 1
; LDSByteSize: 0 bytes/workgroup (compile time only)
; SGPRBlocks: 5
; VGPRBlocks: 6
; NumSGPRsForWavesPerEU: 46
; NumVGPRsForWavesPerEU: 54
; Occupancy: 16
; WaveLimiterHint : 1
; COMPUTE_PGM_RSRC2:SCRATCH_EN: 1
; COMPUTE_PGM_RSRC2:USER_SGPR: 13
; COMPUTE_PGM_RSRC2:TRAP_HANDLER: 0
; COMPUTE_PGM_RSRC2:TGID_X_EN: 1
; COMPUTE_PGM_RSRC2:TGID_Y_EN: 1
; COMPUTE_PGM_RSRC2:TGID_Z_EN: 1
; COMPUTE_PGM_RSRC2:TIDIG_COMP_CNT: 0
	.section	.text._ZL12soft_max_f32ILb1ELi4096ELi1024EfEvPKfPKT2_S1_Pf15soft_max_params,"axG",@progbits,_ZL12soft_max_f32ILb1ELi4096ELi1024EfEvPKfPKT2_S1_Pf15soft_max_params,comdat
	.globl	_ZL12soft_max_f32ILb1ELi4096ELi1024EfEvPKfPKT2_S1_Pf15soft_max_params ; -- Begin function _ZL12soft_max_f32ILb1ELi4096ELi1024EfEvPKfPKT2_S1_Pf15soft_max_params
	.p2align	8
	.type	_ZL12soft_max_f32ILb1ELi4096ELi1024EfEvPKfPKT2_S1_Pf15soft_max_params,@function
_ZL12soft_max_f32ILb1ELi4096ELi1024EfEvPKfPKT2_S1_Pf15soft_max_params: ; @_ZL12soft_max_f32ILb1ELi4096ELi1024EfEvPKfPKT2_S1_Pf15soft_max_params
; %bb.0:
	s_clause 0x1
	s_load_b256 s[16:23], s[0:1], 0x68
	s_load_b64 s[4:5], s[0:1], 0x88
	s_mov_b32 s2, s15
	s_mov_b32 s15, 0
	s_delay_alu instid0(SALU_CYCLE_1) | instskip(SKIP_2) | instid1(SALU_CYCLE_1)
	s_mov_b32 s6, s15
	s_waitcnt lgkmcnt(0)
	s_mov_b32 s7, s23
	s_cmp_lg_u64 s[6:7], 0
	s_cbranch_scc0 .LBB14_10
; %bb.1:
	s_ashr_i32 s6, s23, 31
	s_delay_alu instid0(SALU_CYCLE_1) | instskip(SKIP_2) | instid1(SALU_CYCLE_1)
	s_add_u32 s8, s22, s6
	s_mov_b32 s7, s6
	s_addc_u32 s9, s23, s6
	s_xor_b64 s[6:7], s[8:9], s[6:7]
	s_delay_alu instid0(SALU_CYCLE_1) | instskip(SKIP_3) | instid1(VALU_DEP_1)
	v_cvt_f32_u32_e32 v1, s6
	v_cvt_f32_u32_e32 v2, s7
	s_sub_u32 s9, 0, s6
	s_subb_u32 s10, 0, s7
	v_fmamk_f32 v1, v2, 0x4f800000, v1
	s_delay_alu instid0(VALU_DEP_1) | instskip(SKIP_2) | instid1(VALU_DEP_1)
	v_rcp_f32_e32 v1, v1
	s_waitcnt_depctr 0xfff
	v_mul_f32_e32 v1, 0x5f7ffffc, v1
	v_mul_f32_e32 v2, 0x2f800000, v1
	s_delay_alu instid0(VALU_DEP_1) | instskip(NEXT) | instid1(VALU_DEP_1)
	v_trunc_f32_e32 v2, v2
	v_fmamk_f32 v1, v2, 0xcf800000, v1
	v_cvt_u32_f32_e32 v2, v2
	s_delay_alu instid0(VALU_DEP_2) | instskip(NEXT) | instid1(VALU_DEP_2)
	v_cvt_u32_f32_e32 v1, v1
	v_readfirstlane_b32 s3, v2
	s_delay_alu instid0(VALU_DEP_2) | instskip(NEXT) | instid1(VALU_DEP_2)
	v_readfirstlane_b32 s8, v1
	s_mul_i32 s11, s9, s3
	s_delay_alu instid0(VALU_DEP_1)
	s_mul_hi_u32 s23, s9, s8
	s_mul_i32 s12, s10, s8
	s_add_i32 s11, s23, s11
	s_mul_i32 s24, s9, s8
	s_add_i32 s11, s11, s12
	s_mul_hi_u32 s23, s8, s24
	s_mul_hi_u32 s25, s3, s24
	s_mul_i32 s12, s3, s24
	s_mul_hi_u32 s24, s8, s11
	s_mul_i32 s8, s8, s11
	s_mul_hi_u32 s26, s3, s11
	s_add_u32 s8, s23, s8
	s_addc_u32 s23, 0, s24
	s_add_u32 s8, s8, s12
	s_mul_i32 s11, s3, s11
	s_addc_u32 s8, s23, s25
	s_addc_u32 s12, s26, 0
	s_add_u32 s8, s8, s11
	s_addc_u32 s11, 0, s12
	v_add_co_u32 v1, s8, v1, s8
	s_delay_alu instid0(VALU_DEP_1) | instskip(SKIP_1) | instid1(VALU_DEP_1)
	s_cmp_lg_u32 s8, 0
	s_addc_u32 s3, s3, s11
	v_readfirstlane_b32 s8, v1
	s_mul_i32 s11, s9, s3
	s_delay_alu instid0(VALU_DEP_1)
	s_mul_hi_u32 s12, s9, s8
	s_mul_i32 s10, s10, s8
	s_add_i32 s11, s12, s11
	s_mul_i32 s9, s9, s8
	s_add_i32 s11, s11, s10
	s_mul_hi_u32 s12, s3, s9
	s_mul_i32 s23, s3, s9
	s_mul_hi_u32 s9, s8, s9
	s_mul_hi_u32 s24, s8, s11
	s_mul_i32 s8, s8, s11
	s_mul_hi_u32 s10, s3, s11
	s_add_u32 s8, s9, s8
	s_addc_u32 s9, 0, s24
	s_add_u32 s8, s8, s23
	s_mul_i32 s11, s3, s11
	s_addc_u32 s8, s9, s12
	s_addc_u32 s9, s10, 0
	s_add_u32 s8, s8, s11
	s_addc_u32 s9, 0, s9
	v_add_co_u32 v1, s8, v1, s8
	s_delay_alu instid0(VALU_DEP_1) | instskip(SKIP_1) | instid1(VALU_DEP_1)
	s_cmp_lg_u32 s8, 0
	s_addc_u32 s3, s3, s9
	v_readfirstlane_b32 s8, v1
	s_mul_i32 s9, s14, s3
	s_mul_hi_u32 s3, s14, s3
	s_delay_alu instid0(VALU_DEP_1) | instskip(NEXT) | instid1(SALU_CYCLE_1)
	s_mul_hi_u32 s8, s14, s8
	s_add_u32 s8, s8, s9
	s_addc_u32 s3, 0, s3
	s_add_u32 s8, s8, 0
	s_addc_u32 s3, s3, 0
	s_addc_u32 s8, 0, 0
	s_add_u32 s3, s3, 0
	s_addc_u32 s8, 0, s8
	s_mul_hi_u32 s9, s6, s3
	s_mul_i32 s8, s6, s8
	s_mul_i32 s10, s7, s3
	;; [unrolled: 1-line block ×3, first 2 shown]
	s_add_i32 s8, s9, s8
	v_sub_co_u32 v1, s3, s14, s3
	s_add_i32 s8, s8, s10
	s_delay_alu instid0(SALU_CYCLE_1) | instskip(SKIP_1) | instid1(VALU_DEP_1)
	s_sub_i32 s9, 0, s8
	s_cmp_lg_u32 s3, 0
	v_sub_co_u32 v2, s10, v1, s6
	s_subb_u32 s9, s9, s7
	s_cmp_lg_u32 s10, 0
	s_subb_u32 s11, s9, 0
	s_delay_alu instid0(VALU_DEP_1)
	v_cmp_le_u32_e32 vcc_lo, s6, v2
	s_cmp_ge_u32 s11, s7
	s_cselect_b32 s12, -1, 0
	s_cmp_eq_u32 s11, s7
	v_cndmask_b32_e64 v3, 0, -1, vcc_lo
	s_cselect_b32 vcc_lo, -1, 0
	s_cmp_lg_u32 s10, 0
	v_sub_co_u32 v4, s10, v2, s6
	s_subb_u32 s9, s9, s7
	s_cmp_lg_u32 s10, 0
	v_cndmask_b32_e32 v3, s12, v3, vcc_lo
	s_subb_u32 s9, s9, 0
	s_cmp_lg_u32 s3, 0
	v_cmp_le_u32_e32 vcc_lo, s6, v1
	s_subb_u32 s8, 0, s8
	s_delay_alu instid0(SALU_CYCLE_1)
	s_cmp_ge_u32 s8, s7
	v_cndmask_b32_e64 v5, 0, -1, vcc_lo
	s_cselect_b32 s6, -1, 0
	s_cmp_eq_u32 s8, s7
	v_cmp_ne_u32_e32 vcc_lo, 0, v3
	v_mov_b32_e32 v3, s9
	s_cselect_b32 s3, -1, 0
	s_delay_alu instid0(SALU_CYCLE_1) | instskip(SKIP_1) | instid1(VALU_DEP_3)
	v_cndmask_b32_e64 v5, s6, v5, s3
	v_cndmask_b32_e32 v2, v2, v4, vcc_lo
	v_cndmask_b32_e32 v3, s11, v3, vcc_lo
	s_mov_b32 s3, s15
	s_delay_alu instid0(VALU_DEP_3) | instskip(NEXT) | instid1(VALU_DEP_3)
	v_cmp_ne_u32_e32 vcc_lo, 0, v5
	v_cndmask_b32_e32 v1, v1, v2, vcc_lo
	s_delay_alu instid0(VALU_DEP_3) | instskip(NEXT) | instid1(VALU_DEP_2)
	v_cndmask_b32_e32 v3, s8, v3, vcc_lo
	v_sub_co_u32 v1, vcc_lo, v1, 0
	s_delay_alu instid0(VALU_DEP_2)
	v_subrev_co_ci_u32_e32 v2, vcc_lo, 0, v3, vcc_lo
	s_and_not1_b32 vcc_lo, exec_lo, s3
	s_cbranch_vccnz .LBB14_3
.LBB14_2:
	v_cvt_f32_u32_e32 v1, s22
	s_mov_b32 s7, 0
	s_sub_i32 s6, 0, s22
	s_delay_alu instid0(VALU_DEP_1) | instskip(SKIP_2) | instid1(VALU_DEP_1)
	v_rcp_iflag_f32_e32 v1, v1
	s_waitcnt_depctr 0xfff
	v_mul_f32_e32 v1, 0x4f7ffffe, v1
	v_cvt_u32_f32_e32 v1, v1
	s_delay_alu instid0(VALU_DEP_1) | instskip(NEXT) | instid1(VALU_DEP_1)
	v_readfirstlane_b32 s3, v1
	s_mul_i32 s6, s6, s3
	s_delay_alu instid0(SALU_CYCLE_1) | instskip(NEXT) | instid1(SALU_CYCLE_1)
	s_mul_hi_u32 s6, s3, s6
	s_add_i32 s3, s3, s6
	s_delay_alu instid0(SALU_CYCLE_1) | instskip(NEXT) | instid1(SALU_CYCLE_1)
	s_mul_hi_u32 s3, s14, s3
	s_mul_i32 s3, s3, s22
	s_delay_alu instid0(SALU_CYCLE_1) | instskip(NEXT) | instid1(SALU_CYCLE_1)
	s_sub_i32 s3, s14, s3
	s_sub_i32 s6, s3, s22
	s_cmp_ge_u32 s3, s22
	s_cselect_b32 s3, s6, s3
	s_delay_alu instid0(SALU_CYCLE_1) | instskip(SKIP_2) | instid1(SALU_CYCLE_1)
	s_sub_i32 s6, s3, s22
	s_cmp_ge_u32 s3, s22
	s_cselect_b32 s6, s6, s3
	v_dual_mov_b32 v1, s6 :: v_dual_mov_b32 v2, s7
.LBB14_3:
	s_load_b64 s[22:23], s[0:1], 0x90
	s_mov_b32 s6, 0
	s_mov_b32 s7, s5
	s_delay_alu instid0(SALU_CYCLE_1)
	s_cmp_lg_u64 s[6:7], 0
	s_cbranch_scc0 .LBB14_11
; %bb.4:
	s_ashr_i32 s8, s5, 31
	s_delay_alu instid0(SALU_CYCLE_1) | instskip(SKIP_2) | instid1(SALU_CYCLE_1)
	s_add_u32 s10, s4, s8
	s_mov_b32 s9, s8
	s_addc_u32 s11, s5, s8
	s_xor_b64 s[8:9], s[10:11], s[8:9]
	s_delay_alu instid0(SALU_CYCLE_1) | instskip(SKIP_3) | instid1(VALU_DEP_1)
	v_cvt_f32_u32_e32 v3, s8
	v_cvt_f32_u32_e32 v4, s9
	s_sub_u32 s7, 0, s8
	s_subb_u32 s10, 0, s9
	v_fmamk_f32 v3, v4, 0x4f800000, v3
	s_delay_alu instid0(VALU_DEP_1) | instskip(SKIP_2) | instid1(VALU_DEP_1)
	v_rcp_f32_e32 v3, v3
	s_waitcnt_depctr 0xfff
	v_mul_f32_e32 v3, 0x5f7ffffc, v3
	v_mul_f32_e32 v4, 0x2f800000, v3
	s_delay_alu instid0(VALU_DEP_1) | instskip(NEXT) | instid1(VALU_DEP_1)
	v_trunc_f32_e32 v4, v4
	v_fmamk_f32 v3, v4, 0xcf800000, v3
	v_cvt_u32_f32_e32 v4, v4
	s_delay_alu instid0(VALU_DEP_2) | instskip(NEXT) | instid1(VALU_DEP_2)
	v_cvt_u32_f32_e32 v3, v3
	v_readfirstlane_b32 s3, v4
	s_delay_alu instid0(VALU_DEP_2) | instskip(NEXT) | instid1(VALU_DEP_2)
	v_readfirstlane_b32 s5, v3
	s_mul_i32 s11, s7, s3
	s_delay_alu instid0(VALU_DEP_1)
	s_mul_hi_u32 s24, s7, s5
	s_mul_i32 s12, s10, s5
	s_add_i32 s11, s24, s11
	s_mul_i32 s25, s7, s5
	s_add_i32 s11, s11, s12
	s_mul_hi_u32 s24, s5, s25
	s_mul_hi_u32 s26, s3, s25
	s_mul_i32 s12, s3, s25
	s_mul_hi_u32 s25, s5, s11
	s_mul_i32 s5, s5, s11
	s_mul_hi_u32 s27, s3, s11
	s_add_u32 s5, s24, s5
	s_addc_u32 s24, 0, s25
	s_add_u32 s5, s5, s12
	s_mul_i32 s11, s3, s11
	s_addc_u32 s5, s24, s26
	s_addc_u32 s12, s27, 0
	s_add_u32 s5, s5, s11
	s_addc_u32 s11, 0, s12
	v_add_co_u32 v3, s5, v3, s5
	s_delay_alu instid0(VALU_DEP_1) | instskip(SKIP_1) | instid1(VALU_DEP_1)
	s_cmp_lg_u32 s5, 0
	s_addc_u32 s3, s3, s11
	v_readfirstlane_b32 s5, v3
	s_mul_i32 s11, s7, s3
	s_delay_alu instid0(VALU_DEP_1)
	s_mul_hi_u32 s12, s7, s5
	s_mul_i32 s10, s10, s5
	s_add_i32 s11, s12, s11
	s_mul_i32 s7, s7, s5
	s_add_i32 s11, s11, s10
	s_mul_hi_u32 s12, s3, s7
	s_mul_i32 s24, s3, s7
	s_mul_hi_u32 s7, s5, s7
	s_mul_hi_u32 s25, s5, s11
	s_mul_i32 s5, s5, s11
	s_mul_hi_u32 s10, s3, s11
	s_add_u32 s5, s7, s5
	s_addc_u32 s7, 0, s25
	s_add_u32 s5, s5, s24
	s_mul_i32 s11, s3, s11
	s_addc_u32 s5, s7, s12
	s_addc_u32 s7, s10, 0
	s_add_u32 s5, s5, s11
	s_addc_u32 s7, 0, s7
	v_add_co_u32 v3, s5, v3, s5
	s_delay_alu instid0(VALU_DEP_1) | instskip(SKIP_1) | instid1(VALU_DEP_1)
	s_cmp_lg_u32 s5, 0
	s_addc_u32 s3, s3, s7
	v_readfirstlane_b32 s5, v3
	s_mul_i32 s7, s2, s3
	s_mul_hi_u32 s3, s2, s3
	s_delay_alu instid0(VALU_DEP_1) | instskip(NEXT) | instid1(SALU_CYCLE_1)
	s_mul_hi_u32 s5, s2, s5
	s_add_u32 s5, s5, s7
	s_addc_u32 s3, 0, s3
	s_add_u32 s5, s5, 0
	s_addc_u32 s3, s3, 0
	s_addc_u32 s5, 0, 0
	s_add_u32 s3, s3, 0
	s_addc_u32 s5, 0, s5
	s_mul_hi_u32 s7, s8, s3
	s_mul_i32 s5, s8, s5
	s_mul_i32 s10, s9, s3
	;; [unrolled: 1-line block ×3, first 2 shown]
	s_add_i32 s5, s7, s5
	v_sub_co_u32 v3, s3, s2, s3
	s_add_i32 s5, s5, s10
	s_delay_alu instid0(SALU_CYCLE_1) | instskip(SKIP_1) | instid1(VALU_DEP_1)
	s_sub_i32 s7, 0, s5
	s_cmp_lg_u32 s3, 0
	v_sub_co_u32 v4, s10, v3, s8
	s_subb_u32 s7, s7, s9
	s_cmp_lg_u32 s10, 0
	s_subb_u32 s11, s7, 0
	s_delay_alu instid0(VALU_DEP_1)
	v_cmp_le_u32_e32 vcc_lo, s8, v4
	s_cmp_ge_u32 s11, s9
	s_cselect_b32 s12, -1, 0
	s_cmp_eq_u32 s11, s9
	v_cndmask_b32_e64 v5, 0, -1, vcc_lo
	s_cselect_b32 vcc_lo, -1, 0
	s_cmp_lg_u32 s10, 0
	v_sub_co_u32 v6, s10, v4, s8
	s_subb_u32 s7, s7, s9
	s_cmp_lg_u32 s10, 0
	v_cndmask_b32_e32 v5, s12, v5, vcc_lo
	s_subb_u32 s7, s7, 0
	s_cmp_lg_u32 s3, 0
	v_cmp_le_u32_e32 vcc_lo, s8, v3
	s_subb_u32 s5, 0, s5
	s_delay_alu instid0(SALU_CYCLE_1)
	s_cmp_ge_u32 s5, s9
	v_cndmask_b32_e64 v7, 0, -1, vcc_lo
	s_cselect_b32 s8, -1, 0
	s_cmp_eq_u32 s5, s9
	v_cmp_ne_u32_e32 vcc_lo, 0, v5
	v_mov_b32_e32 v5, s7
	s_cselect_b32 s3, -1, 0
	s_delay_alu instid0(SALU_CYCLE_1) | instskip(SKIP_1) | instid1(VALU_DEP_3)
	v_cndmask_b32_e64 v7, s8, v7, s3
	v_cndmask_b32_e32 v4, v4, v6, vcc_lo
	v_cndmask_b32_e32 v5, s11, v5, vcc_lo
	s_delay_alu instid0(VALU_DEP_3) | instskip(NEXT) | instid1(VALU_DEP_3)
	v_cmp_ne_u32_e32 vcc_lo, 0, v7
	v_cndmask_b32_e32 v3, v3, v4, vcc_lo
	s_delay_alu instid0(VALU_DEP_3) | instskip(NEXT) | instid1(VALU_DEP_2)
	v_cndmask_b32_e32 v5, s5, v5, vcc_lo
	v_sub_co_u32 v3, vcc_lo, v3, 0
	s_delay_alu instid0(VALU_DEP_2)
	v_subrev_co_ci_u32_e32 v4, vcc_lo, 0, v5, vcc_lo
	s_and_not1_b32 vcc_lo, exec_lo, s6
	s_cbranch_vccnz .LBB14_6
.LBB14_5:
	v_cvt_f32_u32_e32 v3, s4
	s_sub_i32 s5, 0, s4
	s_delay_alu instid0(VALU_DEP_1) | instskip(SKIP_2) | instid1(VALU_DEP_1)
	v_rcp_iflag_f32_e32 v3, v3
	s_waitcnt_depctr 0xfff
	v_mul_f32_e32 v3, 0x4f7ffffe, v3
	v_cvt_u32_f32_e32 v3, v3
	s_delay_alu instid0(VALU_DEP_1) | instskip(NEXT) | instid1(VALU_DEP_1)
	v_readfirstlane_b32 s3, v3
	s_mul_i32 s5, s5, s3
	s_delay_alu instid0(SALU_CYCLE_1) | instskip(NEXT) | instid1(SALU_CYCLE_1)
	s_mul_hi_u32 s5, s3, s5
	s_add_i32 s3, s3, s5
	s_delay_alu instid0(SALU_CYCLE_1) | instskip(NEXT) | instid1(SALU_CYCLE_1)
	s_mul_hi_u32 s3, s2, s3
	s_mul_i32 s3, s3, s4
	s_delay_alu instid0(SALU_CYCLE_1) | instskip(NEXT) | instid1(SALU_CYCLE_1)
	s_sub_i32 s3, s2, s3
	s_sub_i32 s5, s3, s4
	s_cmp_ge_u32 s3, s4
	s_cselect_b32 s3, s5, s3
	s_mov_b32 s5, 0
	s_sub_i32 s6, s3, s4
	s_cmp_ge_u32 s3, s4
	s_cselect_b32 s4, s6, s3
	s_delay_alu instid0(SALU_CYCLE_1)
	v_dual_mov_b32 v3, s4 :: v_dual_mov_b32 v4, s5
.LBB14_6:
	s_load_b64 s[24:25], s[0:1], 0xa0
	s_waitcnt lgkmcnt(0)
	v_cmp_le_f32_e64 s3, s23, 0
	v_mov_b32_e32 v7, 1.0
	s_delay_alu instid0(VALU_DEP_2)
	s_and_b32 vcc_lo, exec_lo, s3
	s_cbranch_vccnz .LBB14_8
; %bb.7:
	s_clause 0x1
	s_load_b32 s3, s[0:1], 0x28
	s_load_b64 s[4:5], s[0:1], 0x98
	s_add_i32 s7, s14, 1
	s_waitcnt lgkmcnt(0)
	s_sub_i32 s6, s14, s3
	v_mov_b32_e32 v5, s4
	s_lshl_b32 s6, s6, 1
	s_delay_alu instid0(SALU_CYCLE_1)
	s_or_b32 s4, s6, 1
	s_cmp_lt_u32 s14, s3
	s_cselect_b32 vcc_lo, -1, 0
	v_cndmask_b32_e32 v7, s5, v5, vcc_lo
	s_and_b32 s3, vcc_lo, exec_lo
	s_cselect_b32 s3, s7, s4
	s_mov_b32 s4, 0x3e76c4e1
	v_cvt_f32_i32_e32 v5, s3
	v_cmp_neq_f32_e32 vcc_lo, 1.0, v7
	s_delay_alu instid0(VALU_DEP_2) | instskip(NEXT) | instid1(VALU_DEP_1)
	v_cndmask_b32_e32 v8, 1.0, v5, vcc_lo
	v_cmp_eq_f32_e32 vcc_lo, 0, v8
	v_cndmask_b32_e64 v9, |v7|, 1.0, vcc_lo
	s_delay_alu instid0(VALU_DEP_1) | instskip(NEXT) | instid1(VALU_DEP_1)
	v_frexp_mant_f32_e32 v5, v9
	v_cmp_gt_f32_e64 s3, 0x3f2aaaab, v5
	s_delay_alu instid0(VALU_DEP_1) | instskip(NEXT) | instid1(VALU_DEP_1)
	v_cndmask_b32_e64 v6, 1.0, 2.0, s3
	v_mul_f32_e32 v5, v5, v6
	s_delay_alu instid0(VALU_DEP_1) | instskip(SKIP_1) | instid1(VALU_DEP_2)
	v_add_f32_e32 v6, 1.0, v5
	v_add_f32_e32 v11, -1.0, v5
	v_rcp_f32_e32 v10, v6
	s_waitcnt_depctr 0xfff
	v_mul_f32_e32 v12, v11, v10
	s_delay_alu instid0(VALU_DEP_1) | instskip(NEXT) | instid1(VALU_DEP_1)
	v_dual_add_f32 v13, -1.0, v6 :: v_dual_mul_f32 v14, v6, v12
	v_sub_f32_e32 v5, v5, v13
	v_cndmask_b32_e64 v7, v7, 1.0, vcc_lo
	s_delay_alu instid0(VALU_DEP_3) | instskip(NEXT) | instid1(VALU_DEP_2)
	v_fma_f32 v6, v12, v6, -v14
	v_cmp_eq_f32_e64 s5, 0, v7
	s_delay_alu instid0(VALU_DEP_2) | instskip(NEXT) | instid1(VALU_DEP_1)
	v_fmac_f32_e32 v6, v12, v5
	v_add_f32_e32 v5, v14, v6
	s_delay_alu instid0(VALU_DEP_1) | instskip(NEXT) | instid1(VALU_DEP_1)
	v_dual_sub_f32 v14, v5, v14 :: v_dual_sub_f32 v13, v11, v5
	v_dual_sub_f32 v6, v14, v6 :: v_dual_sub_f32 v11, v11, v13
	s_delay_alu instid0(VALU_DEP_1) | instskip(NEXT) | instid1(VALU_DEP_1)
	v_sub_f32_e32 v5, v11, v5
	v_add_f32_e32 v5, v6, v5
	s_delay_alu instid0(VALU_DEP_1) | instskip(NEXT) | instid1(VALU_DEP_1)
	v_add_f32_e32 v5, v13, v5
	v_mul_f32_e32 v5, v10, v5
	s_delay_alu instid0(VALU_DEP_1) | instskip(NEXT) | instid1(VALU_DEP_1)
	v_add_f32_e32 v10, v12, v5
	v_sub_f32_e32 v6, v10, v12
	v_mul_f32_e32 v11, v10, v10
	s_delay_alu instid0(VALU_DEP_2) | instskip(NEXT) | instid1(VALU_DEP_2)
	v_sub_f32_e32 v12, v5, v6
	v_fma_f32 v13, v10, v10, -v11
	s_delay_alu instid0(VALU_DEP_2) | instskip(NEXT) | instid1(VALU_DEP_1)
	v_add_f32_e32 v5, v12, v12
	v_fmac_f32_e32 v13, v10, v5
	v_cvt_f64_f32_e32 v[5:6], v9
	s_delay_alu instid0(VALU_DEP_2) | instskip(NEXT) | instid1(VALU_DEP_1)
	v_add_f32_e32 v14, v11, v13
	v_fmaak_f32 v15, s4, v14, 0x3e91f4c4
	v_sub_f32_e32 v11, v14, v11
	v_mul_f32_e32 v18, v10, v14
	s_delay_alu instid0(VALU_DEP_3) | instskip(NEXT) | instid1(VALU_DEP_3)
	v_fmaak_f32 v15, v14, v15, 0x3ecccdef
	v_sub_f32_e32 v11, v13, v11
	s_delay_alu instid0(VALU_DEP_2) | instskip(NEXT) | instid1(VALU_DEP_1)
	v_mul_f32_e32 v16, v14, v15
	v_fma_f32 v13, v14, v15, -v16
	s_delay_alu instid0(VALU_DEP_1) | instskip(NEXT) | instid1(VALU_DEP_1)
	v_fmac_f32_e32 v13, v11, v15
	v_add_f32_e32 v15, v16, v13
	v_frexp_exp_i32_f64_e32 v5, v[5:6]
	s_delay_alu instid0(VALU_DEP_2) | instskip(NEXT) | instid1(VALU_DEP_1)
	v_sub_f32_e32 v16, v15, v16
	v_sub_f32_e32 v6, v13, v16
	v_fma_f32 v16, v14, v10, -v18
	s_delay_alu instid0(VALU_DEP_2) | instskip(NEXT) | instid1(VALU_DEP_2)
	v_add_f32_e32 v6, 0x31739010, v6
	v_dual_add_f32 v17, 0x3f2aaaaa, v15 :: v_dual_fmac_f32 v16, v14, v12
	v_ldexp_f32 v12, v12, 1
	s_delay_alu instid0(VALU_DEP_2) | instskip(NEXT) | instid1(VALU_DEP_1)
	v_dual_add_f32 v13, 0xbf2aaaaa, v17 :: v_dual_fmac_f32 v16, v11, v10
	v_sub_f32_e32 v13, v15, v13
	s_delay_alu instid0(VALU_DEP_1) | instskip(NEXT) | instid1(VALU_DEP_3)
	v_add_f32_e32 v6, v6, v13
	v_add_f32_e32 v13, v18, v16
	s_delay_alu instid0(VALU_DEP_2) | instskip(NEXT) | instid1(VALU_DEP_1)
	v_add_f32_e32 v11, v17, v6
	v_sub_f32_e32 v14, v17, v11
	s_delay_alu instid0(VALU_DEP_3) | instskip(SKIP_2) | instid1(VALU_DEP_4)
	v_mul_f32_e32 v15, v13, v11
	v_sub_f32_e32 v17, v13, v18
	v_subrev_co_ci_u32_e64 v5, s3, 0, v5, s3
	v_add_f32_e32 v6, v6, v14
	s_delay_alu instid0(VALU_DEP_4) | instskip(NEXT) | instid1(VALU_DEP_4)
	v_fma_f32 v14, v13, v11, -v15
	v_sub_f32_e32 v16, v16, v17
	s_delay_alu instid0(VALU_DEP_4) | instskip(NEXT) | instid1(VALU_DEP_3)
	v_cvt_f32_i32_e32 v5, v5
	v_fmac_f32_e32 v14, v13, v6
	v_ldexp_f32 v6, v10, 1
	s_delay_alu instid0(VALU_DEP_2) | instskip(NEXT) | instid1(VALU_DEP_1)
	v_fmac_f32_e32 v14, v16, v11
	v_add_f32_e32 v10, v15, v14
	s_delay_alu instid0(VALU_DEP_1) | instskip(NEXT) | instid1(VALU_DEP_1)
	v_add_f32_e32 v11, v6, v10
	v_dual_sub_f32 v6, v11, v6 :: v_dual_sub_f32 v13, v10, v15
	s_delay_alu instid0(VALU_DEP_1) | instskip(NEXT) | instid1(VALU_DEP_2)
	v_sub_f32_e32 v6, v10, v6
	v_sub_f32_e32 v13, v14, v13
	s_delay_alu instid0(VALU_DEP_1) | instskip(NEXT) | instid1(VALU_DEP_1)
	v_add_f32_e32 v10, v12, v13
	v_dual_mul_f32 v15, 0x3f317218, v5 :: v_dual_add_f32 v6, v10, v6
	s_delay_alu instid0(VALU_DEP_1) | instskip(NEXT) | instid1(VALU_DEP_2)
	v_fma_f32 v14, 0x3f317218, v5, -v15
	v_add_f32_e32 v12, v11, v6
	s_delay_alu instid0(VALU_DEP_1) | instskip(NEXT) | instid1(VALU_DEP_1)
	v_sub_f32_e32 v11, v12, v11
	v_dual_fmamk_f32 v5, v5, 0xb102e308, v14 :: v_dual_sub_f32 v6, v6, v11
	s_delay_alu instid0(VALU_DEP_1) | instskip(NEXT) | instid1(VALU_DEP_1)
	v_add_f32_e32 v10, v15, v5
	v_add_f32_e32 v13, v10, v12
	s_delay_alu instid0(VALU_DEP_1) | instskip(NEXT) | instid1(VALU_DEP_1)
	v_dual_sub_f32 v15, v10, v15 :: v_dual_sub_f32 v14, v13, v10
	v_sub_f32_e32 v16, v13, v14
	s_delay_alu instid0(VALU_DEP_2) | instskip(NEXT) | instid1(VALU_DEP_2)
	v_sub_f32_e32 v5, v5, v15
	v_dual_sub_f32 v11, v12, v14 :: v_dual_sub_f32 v10, v10, v16
	s_delay_alu instid0(VALU_DEP_2) | instskip(NEXT) | instid1(VALU_DEP_2)
	v_add_f32_e32 v12, v5, v6
	v_add_f32_e32 v10, v11, v10
	s_delay_alu instid0(VALU_DEP_1) | instskip(NEXT) | instid1(VALU_DEP_1)
	v_add_f32_e32 v10, v12, v10
	v_dual_sub_f32 v11, v12, v5 :: v_dual_add_f32 v14, v13, v10
	s_delay_alu instid0(VALU_DEP_1) | instskip(SKIP_1) | instid1(VALU_DEP_3)
	v_sub_f32_e32 v12, v12, v11
	v_sub_f32_e32 v6, v6, v11
	;; [unrolled: 1-line block ×3, first 2 shown]
	s_delay_alu instid0(VALU_DEP_3) | instskip(NEXT) | instid1(VALU_DEP_1)
	v_sub_f32_e32 v5, v5, v12
	v_add_f32_e32 v5, v6, v5
	s_delay_alu instid0(VALU_DEP_3) | instskip(NEXT) | instid1(VALU_DEP_1)
	v_sub_f32_e32 v6, v10, v11
	v_add_f32_e32 v5, v5, v6
	s_delay_alu instid0(VALU_DEP_1) | instskip(NEXT) | instid1(VALU_DEP_1)
	v_add_f32_e32 v6, v14, v5
	v_mul_f32_e32 v11, v8, v6
	v_sub_f32_e32 v10, v6, v14
	s_delay_alu instid0(VALU_DEP_2) | instskip(NEXT) | instid1(VALU_DEP_2)
	v_fma_f32 v6, v8, v6, -v11
	v_sub_f32_e32 v5, v5, v10
	v_cmp_class_f32_e64 s3, v11, 0x204
	s_delay_alu instid0(VALU_DEP_2) | instskip(NEXT) | instid1(VALU_DEP_1)
	v_fmac_f32_e32 v6, v8, v5
	v_add_f32_e32 v5, v11, v6
	s_delay_alu instid0(VALU_DEP_1) | instskip(NEXT) | instid1(VALU_DEP_1)
	v_cndmask_b32_e64 v10, v5, v11, s3
	v_cmp_eq_f32_e64 s3, 0x42b17218, v10
	s_delay_alu instid0(VALU_DEP_1) | instskip(SKIP_1) | instid1(VALU_DEP_2)
	v_cndmask_b32_e64 v12, 0, 0x37000000, s3
	v_cmp_neq_f32_e64 s3, 0x7f800000, |v10|
	v_sub_f32_e32 v13, v10, v12
	v_trunc_f32_e32 v10, v8
	s_delay_alu instid0(VALU_DEP_2) | instskip(NEXT) | instid1(VALU_DEP_1)
	v_mul_f32_e32 v14, 0x3fb8aa3b, v13
	v_fma_f32 v15, 0x3fb8aa3b, v13, -v14
	v_rndne_f32_e32 v16, v14
	s_delay_alu instid0(VALU_DEP_1) | instskip(NEXT) | instid1(VALU_DEP_1)
	v_dual_fmamk_f32 v15, v13, 0x32a5705f, v15 :: v_dual_sub_f32 v14, v14, v16
	v_add_f32_e32 v14, v14, v15
	v_sub_f32_e32 v5, v5, v11
	v_cvt_i32_f32_e32 v11, v16
	s_delay_alu instid0(VALU_DEP_3) | instskip(NEXT) | instid1(VALU_DEP_2)
	v_exp_f32_e32 v14, v14
	v_sub_f32_e32 v5, v6, v5
	s_delay_alu instid0(VALU_DEP_1)
	v_cndmask_b32_e64 v5, 0, v5, s3
	v_cmp_ngt_f32_e64 s3, 0xc2ce8ed0, v13
	s_waitcnt_depctr 0xfff
	v_ldexp_f32 v6, v14, v11
	v_mul_f32_e32 v11, 0.5, v8
	v_add_f32_e32 v5, v12, v5
	s_delay_alu instid0(VALU_DEP_3) | instskip(NEXT) | instid1(VALU_DEP_3)
	v_cndmask_b32_e64 v6, 0, v6, s3
	v_trunc_f32_e32 v14, v11
	v_cmp_nlt_f32_e64 s3, 0x42b17218, v13
	s_delay_alu instid0(VALU_DEP_2) | instskip(NEXT) | instid1(VALU_DEP_2)
	v_cmp_neq_f32_e64 s4, v14, v11
	v_cndmask_b32_e64 v6, 0x7f800000, v6, s3
	v_cmp_eq_f32_e64 s3, v10, v8
	s_delay_alu instid0(VALU_DEP_2) | instskip(NEXT) | instid1(VALU_DEP_2)
	v_fma_f32 v5, v6, v5, v6
	s_and_b32 vcc_lo, s3, s4
	v_cmp_class_f32_e64 s4, v6, 0x204
	v_cndmask_b32_e32 v10, 1.0, v7, vcc_lo
	s_delay_alu instid0(VALU_DEP_2) | instskip(SKIP_1) | instid1(VALU_DEP_2)
	v_cndmask_b32_e64 v5, v5, v6, s4
	v_cmp_gt_f32_e64 s4, 0, v8
	v_bfi_b32 v5, 0x7fffffff, v5, v10
	v_cndmask_b32_e32 v10, 0, v7, vcc_lo
	s_delay_alu instid0(VALU_DEP_3)
	s_xor_b32 s4, s4, s5
	v_cmp_eq_f32_e32 vcc_lo, 0x7f800000, v9
	v_cndmask_b32_e64 v6, 0x7f800000, 0, s4
	v_cndmask_b32_e64 v8, 0x7fc00000, v5, s3
	v_cmp_gt_f32_e64 s3, 0, v7
	s_or_b32 vcc_lo, vcc_lo, s5
	s_delay_alu instid0(VALU_DEP_3) | instskip(NEXT) | instid1(VALU_DEP_2)
	v_bfi_b32 v6, 0x7fffffff, v6, v10
	v_cndmask_b32_e64 v5, v5, v8, s3
	s_delay_alu instid0(VALU_DEP_1) | instskip(SKIP_1) | instid1(VALU_DEP_2)
	v_cndmask_b32_e32 v5, v5, v6, vcc_lo
	v_cmp_o_f32_e32 vcc_lo, v7, v7
	v_cndmask_b32_e32 v7, 0x7fc00000, v5, vcc_lo
.LBB14_8:
	s_load_b256 s[4:11], s[0:1], 0x0
	s_waitcnt lgkmcnt(0)
	s_cmp_lg_u64 s[8:9], 0
	s_cselect_b32 s1, -1, 0
	s_cmp_eq_u64 s[8:9], 0
	s_cbranch_scc1 .LBB14_12
; %bb.9:
	s_lshl_b64 s[26:27], s[14:15], 2
	s_delay_alu instid0(SALU_CYCLE_1)
	s_add_u32 s26, s8, s26
	s_addc_u32 s27, s9, s27
	s_load_b32 s12, s[26:27], 0x0
	s_branch .LBB14_13
.LBB14_10:
                                        ; implicit-def: $vgpr1_vgpr2
	s_branch .LBB14_2
.LBB14_11:
                                        ; implicit-def: $vgpr3_vgpr4
	s_branch .LBB14_5
.LBB14_12:
	s_mov_b32 s12, 0xff800000
.LBB14_13:
	v_mul_lo_u32 v8, v1, s19
	v_mul_hi_u32 v9, v1, s18
	s_mul_i32 s0, s25, s2
	v_mul_lo_u32 v2, v2, s18
	s_add_i32 s0, s0, s14
	v_mul_lo_u32 v10, v3, s21
	v_mul_hi_u32 v11, v3, s20
	s_mul_i32 s0, s0, s24
	v_mul_lo_u32 v4, v4, s20
	v_dual_mov_b32 v9, 0 :: v_dual_add_nc_u32 v8, v9, v8
	s_add_i32 s2, s0, s13
	v_lshlrev_b32_e32 v5, 2, v0
	s_ashr_i32 s3, s2, 31
	s_delay_alu instid0(VALU_DEP_2)
	v_add_nc_u32_e32 v2, v8, v2
	s_lshl_b64 s[24:25], s[2:3], 14
	v_add_nc_u32_e32 v8, v11, v10
	s_add_u32 s4, s4, s24
	s_addc_u32 s5, s5, s25
	v_mul_lo_u32 v1, v1, s18
	s_mul_i32 s0, s17, s13
	v_add_nc_u32_e32 v4, v8, v4
	v_mov_b32_e32 v8, 0
	global_load_b32 v6, v5, s[4:5]
	s_mul_hi_u32 s17, s16, s13
	v_mul_lo_u32 v3, v3, s20
	s_add_i32 s17, s17, s0
	s_mul_i32 s0, s16, s13
	s_cmp_lg_u64 s[6:7], 0
	v_add_co_u32 v1, vcc_lo, v1, s0
	v_add_co_ci_u32_e32 v2, vcc_lo, s17, v2, vcc_lo
	s_cselect_b32 s0, -1, 0
	s_delay_alu instid0(VALU_DEP_2) | instskip(NEXT) | instid1(VALU_DEP_2)
	v_add_co_u32 v1, vcc_lo, v1, v3
	v_add_co_ci_u32_e32 v2, vcc_lo, v2, v4, vcc_lo
	s_delay_alu instid0(VALU_DEP_1) | instskip(NEXT) | instid1(VALU_DEP_1)
	v_lshrrev_b64 v[1:2], 2, v[1:2]
	v_cndmask_b32_e64 v2, 0, v2, s0
	s_delay_alu instid0(VALU_DEP_2) | instskip(NEXT) | instid1(VALU_DEP_1)
	v_cndmask_b32_e64 v1, 0, v1, s0
	v_lshlrev_b64 v[1:2], 2, v[1:2]
	s_delay_alu instid0(VALU_DEP_1) | instskip(NEXT) | instid1(VALU_DEP_2)
	v_add_co_u32 v10, vcc_lo, s6, v1
	v_add_co_ci_u32_e32 v11, vcc_lo, s7, v2, vcc_lo
	s_and_b32 vcc_lo, exec_lo, s0
	s_cbranch_vccz .LBB14_15
; %bb.14:
	s_delay_alu instid0(VALU_DEP_2) | instskip(NEXT) | instid1(VALU_DEP_2)
	v_readfirstlane_b32 s6, v10
	v_readfirstlane_b32 s7, v11
	global_load_b32 v1, v5, s[6:7]
	s_waitcnt vmcnt(0)
	v_mul_f32_e32 v9, v7, v1
.LBB14_15:
	v_or_b32_e32 v1, 0x400, v0
	v_cndmask_b32_e64 v13, 0, 1, s0
	s_waitcnt vmcnt(0)
	s_delay_alu instid0(VALU_DEP_3)
	v_fmac_f32_e32 v9, s22, v6
	v_lshl_add_u32 v2, v0, 2, 0
	s_and_not1_b32 vcc_lo, exec_lo, s0
	v_lshlrev_b32_e32 v1, 2, v1
	ds_store_b32 v2, v9 offset:128
	global_load_b32 v4, v1, s[4:5]
	s_cbranch_vccnz .LBB14_17
; %bb.16:
	v_readfirstlane_b32 s6, v10
	v_readfirstlane_b32 s7, v11
	global_load_b32 v3, v1, s[6:7]
	s_waitcnt vmcnt(0)
	v_mul_f32_e32 v8, v7, v3
.LBB14_17:
	v_or_b32_e32 v3, 0x800, v0
	v_cmp_ne_u32_e32 vcc_lo, 1, v13
	v_mov_b32_e32 v12, 0
	v_mov_b32_e32 v14, 0
	s_waitcnt vmcnt(0)
	v_dual_fmac_f32 v8, s22, v4 :: v_dual_lshlrev_b32 v3, 2, v3
	v_add3_u32 v4, 0, 0x80, v5
	global_load_b32 v15, v3, s[4:5]
	ds_store_b32 v4, v8 offset:4096
	s_cbranch_vccnz .LBB14_19
; %bb.18:
	v_readfirstlane_b32 s6, v10
	v_readfirstlane_b32 s7, v11
	global_load_b32 v6, v3, s[6:7]
	s_waitcnt vmcnt(0)
	v_mul_f32_e32 v14, v7, v6
.LBB14_19:
	v_or_b32_e32 v6, 0xc00, v0
	v_cmp_ne_u32_e32 vcc_lo, 1, v13
	s_waitcnt vmcnt(0)
	s_delay_alu instid0(VALU_DEP_3) | instskip(NEXT) | instid1(VALU_DEP_3)
	v_fmac_f32_e32 v14, s22, v15
	v_lshlrev_b32_e32 v6, 2, v6
	ds_store_b32 v4, v14 offset:8192
	global_load_b32 v16, v6, s[4:5]
	s_cbranch_vccnz .LBB14_21
; %bb.20:
	v_readfirstlane_b32 s4, v10
	v_readfirstlane_b32 s5, v11
	global_load_b32 v10, v6, s[4:5]
	s_waitcnt vmcnt(0)
	v_mul_f32_e32 v12, v7, v10
.LBB14_21:
	v_mbcnt_lo_u32_b32 v11, -1, 0
	s_waitcnt lgkmcnt(0)
	v_max3_f32 v8, s12, v9, v8
	s_delay_alu instid0(VALU_DEP_2) | instskip(SKIP_1) | instid1(VALU_DEP_2)
	v_xor_b32_e32 v7, 16, v11
	v_xor_b32_e32 v10, 8, v11
	v_cmp_gt_i32_e32 vcc_lo, 32, v7
	s_waitcnt vmcnt(0)
	v_dual_fmac_f32 v12, s22, v16 :: v_dual_cndmask_b32 v7, v11, v7
	s_delay_alu instid0(VALU_DEP_1)
	v_max3_f32 v9, v8, v14, v12
	v_cmp_gt_i32_e32 vcc_lo, 32, v10
	ds_store_b32 v4, v12 offset:12288
	v_dual_cndmask_b32 v10, v11, v10 :: v_dual_lshlrev_b32 v7, 2, v7
	ds_bpermute_b32 v8, v7, v9
	s_waitcnt lgkmcnt(0)
	v_dual_max_f32 v13, v8, v8 :: v_dual_lshlrev_b32 v8, 2, v10
	s_delay_alu instid0(VALU_DEP_1)
	v_max_f32_e32 v10, v9, v13
	v_xor_b32_e32 v13, 4, v11
	ds_bpermute_b32 v9, v8, v10
	v_cmp_gt_i32_e32 vcc_lo, 32, v13
	v_cndmask_b32_e32 v13, v11, v13, vcc_lo
	s_waitcnt lgkmcnt(0)
	v_max_f32_e32 v14, v9, v9
	s_delay_alu instid0(VALU_DEP_2) | instskip(NEXT) | instid1(VALU_DEP_2)
	v_lshlrev_b32_e32 v9, 2, v13
	v_max_f32_e32 v13, v10, v14
	v_xor_b32_e32 v14, 2, v11
	s_delay_alu instid0(VALU_DEP_1) | instskip(SKIP_4) | instid1(VALU_DEP_1)
	v_cmp_gt_i32_e32 vcc_lo, 32, v14
	v_cndmask_b32_e32 v14, v11, v14, vcc_lo
	ds_bpermute_b32 v10, v9, v13
	s_waitcnt lgkmcnt(0)
	v_max_f32_e32 v15, v10, v10
	v_dual_max_f32 v13, v13, v15 :: v_dual_lshlrev_b32 v10, 2, v14
	v_xor_b32_e32 v15, 1, v11
	ds_bpermute_b32 v14, v10, v13
	v_cmp_gt_i32_e32 vcc_lo, 32, v15
	v_cndmask_b32_e32 v11, v11, v15, vcc_lo
	s_waitcnt lgkmcnt(0)
	s_delay_alu instid0(VALU_DEP_1) | instskip(NEXT) | instid1(VALU_DEP_1)
	v_dual_max_f32 v14, v14, v14 :: v_dual_lshlrev_b32 v11, 2, v11
	v_dual_max_f32 v14, v13, v14 :: v_dual_and_b32 v13, 31, v0
	v_lshrrev_b32_e32 v0, 3, v0
	ds_bpermute_b32 v15, v11, v14
	v_cmp_eq_u32_e32 vcc_lo, 0, v13
	s_and_saveexec_b32 s0, vcc_lo
	s_delay_alu instid0(SALU_CYCLE_1)
	s_xor_b32 s0, exec_lo, s0
	s_cbranch_execz .LBB14_23
; %bb.22:
	s_waitcnt lgkmcnt(0)
	v_max_f32_e32 v12, v15, v15
	v_max_f32_e32 v14, v14, v14
	s_delay_alu instid0(VALU_DEP_1)
	v_max_f32_e32 v12, v14, v12
	v_add_nc_u32_e32 v14, 0, v0
	ds_store_b32 v14, v12
.LBB14_23:
	s_or_b32 exec_lo, exec_lo, s0
	v_lshl_add_u32 v12, v13, 2, 0
	s_waitcnt lgkmcnt(0)
	s_barrier
	buffer_gl0_inv
	ds_load_b32 v13, v12
	ds_load_b32 v16, v2 offset:128
	ds_load_b32 v17, v4 offset:12288
	s_waitcnt lgkmcnt(2)
	ds_bpermute_b32 v14, v7, v13
	s_waitcnt lgkmcnt(0)
	v_dual_max_f32 v13, v13, v13 :: v_dual_max_f32 v14, v14, v14
	s_delay_alu instid0(VALU_DEP_1) | instskip(SKIP_3) | instid1(VALU_DEP_1)
	v_max_f32_e32 v13, v13, v14
	ds_bpermute_b32 v14, v8, v13
	s_waitcnt lgkmcnt(0)
	v_max_f32_e32 v14, v14, v14
	v_max_f32_e32 v13, v13, v14
	ds_bpermute_b32 v14, v9, v13
	s_waitcnt lgkmcnt(0)
	v_max_f32_e32 v14, v14, v14
	s_delay_alu instid0(VALU_DEP_1) | instskip(SKIP_3) | instid1(VALU_DEP_1)
	v_max_f32_e32 v13, v13, v14
	ds_bpermute_b32 v14, v10, v13
	s_waitcnt lgkmcnt(0)
	v_max_f32_e32 v14, v14, v14
	v_max_f32_e32 v13, v13, v14
	ds_load_2addr_stride64_b32 v[14:15], v4 offset0:16 offset1:32
	ds_bpermute_b32 v18, v11, v13
	s_waitcnt lgkmcnt(0)
	v_max_f32_e32 v18, v18, v18
	s_delay_alu instid0(VALU_DEP_1) | instskip(NEXT) | instid1(VALU_DEP_1)
	v_max_f32_e32 v13, v13, v18
	v_sub_f32_e32 v15, v15, v13
	s_delay_alu instid0(VALU_DEP_1) | instskip(NEXT) | instid1(VALU_DEP_1)
	v_mul_f32_e32 v20, 0x3fb8aa3b, v15
	v_fma_f32 v26, 0x3fb8aa3b, v15, -v20
	v_rndne_f32_e32 v27, v20
	s_delay_alu instid0(VALU_DEP_2) | instskip(SKIP_3) | instid1(VALU_DEP_2)
	v_fmac_f32_e32 v26, 0x32a5705f, v15
	v_sub_f32_e32 v14, v14, v13
	v_sub_f32_e32 v16, v16, v13
	;; [unrolled: 1-line block ×3, first 2 shown]
	v_dual_mul_f32 v19, 0x3fb8aa3b, v14 :: v_dual_mul_f32 v18, 0x3fb8aa3b, v16
	s_delay_alu instid0(VALU_DEP_2) | instskip(SKIP_1) | instid1(VALU_DEP_3)
	v_mul_f32_e32 v21, 0x3fb8aa3b, v17
	v_cmp_ngt_f32_e64 s0, 0xc2ce8ed0, v16
	v_fma_f32 v24, 0x3fb8aa3b, v14, -v19
	s_delay_alu instid0(VALU_DEP_4) | instskip(SKIP_3) | instid1(VALU_DEP_4)
	v_fma_f32 v22, 0x3fb8aa3b, v16, -v18
	v_rndne_f32_e32 v23, v18
	v_rndne_f32_e32 v25, v19
	v_fma_f32 v28, 0x3fb8aa3b, v17, -v21
	v_fmac_f32_e32 v22, 0x32a5705f, v16
	s_delay_alu instid0(VALU_DEP_3) | instskip(NEXT) | instid1(VALU_DEP_3)
	v_dual_sub_f32 v18, v18, v23 :: v_dual_sub_f32 v19, v19, v25
	v_fmac_f32_e32 v28, 0x32a5705f, v17
	v_cvt_i32_f32_e32 v23, v23
	s_delay_alu instid0(VALU_DEP_3) | instskip(SKIP_2) | instid1(VALU_DEP_3)
	v_add_f32_e32 v18, v18, v22
	v_rndne_f32_e32 v22, v21
	v_sub_f32_e32 v20, v20, v27
	v_exp_f32_e32 v18, v18
	s_delay_alu instid0(VALU_DEP_2) | instskip(SKIP_1) | instid1(VALU_DEP_3)
	v_sub_f32_e32 v21, v21, v22
	v_fmac_f32_e32 v24, 0x32a5705f, v14
	v_add_f32_e32 v20, v20, v26
	v_cvt_i32_f32_e32 v22, v22
	s_delay_alu instid0(VALU_DEP_4) | instskip(NEXT) | instid1(VALU_DEP_4)
	v_add_f32_e32 v21, v21, v28
	v_add_f32_e32 v19, v19, v24
	s_delay_alu instid0(VALU_DEP_4) | instskip(SKIP_1) | instid1(TRANS32_DEP_2)
	v_exp_f32_e32 v20, v20
	v_cvt_i32_f32_e32 v24, v25
	v_ldexp_f32 v18, v18, v23
	v_cvt_i32_f32_e32 v25, v27
	v_exp_f32_e32 v19, v19
	v_exp_f32_e32 v21, v21
	s_delay_alu instid0(VALU_DEP_2) | instskip(SKIP_1) | instid1(TRANS32_DEP_3)
	v_cndmask_b32_e64 v18, 0, v18, s0
	v_cmp_ngt_f32_e64 s0, 0xc2ce8ed0, v14
	v_ldexp_f32 v20, v20, v25
	s_waitcnt_depctr 0xfff
	v_ldexp_f32 v19, v19, v24
	s_delay_alu instid0(VALU_DEP_1) | instskip(SKIP_1) | instid1(VALU_DEP_1)
	v_cndmask_b32_e64 v19, 0, v19, s0
	v_cmp_ngt_f32_e64 s0, 0xc2ce8ed0, v15
	v_cndmask_b32_e64 v20, 0, v20, s0
	v_cmp_nlt_f32_e64 s0, 0x42b17218, v16
	s_delay_alu instid0(VALU_DEP_1) | instskip(SKIP_2) | instid1(VALU_DEP_2)
	v_cndmask_b32_e64 v16, 0x7f800000, v18, s0
	v_cmp_nlt_f32_e64 s0, 0x42b17218, v14
	v_ldexp_f32 v14, v21, v22
	v_cndmask_b32_e64 v18, 0x7f800000, v19, s0
	v_cmp_nlt_f32_e64 s0, 0x42b17218, v15
	s_delay_alu instid0(VALU_DEP_2) | instskip(NEXT) | instid1(VALU_DEP_2)
	v_add_f32_e32 v15, v16, v18
	v_cndmask_b32_e64 v19, 0x7f800000, v20, s0
	v_cmp_ngt_f32_e64 s0, 0xc2ce8ed0, v17
	s_delay_alu instid0(VALU_DEP_2) | instskip(NEXT) | instid1(VALU_DEP_2)
	v_add_f32_e32 v15, v15, v19
	v_cndmask_b32_e64 v14, 0, v14, s0
	v_cmp_nlt_f32_e64 s0, 0x42b17218, v17
	s_delay_alu instid0(VALU_DEP_1)
	v_cndmask_b32_e64 v17, 0x7f800000, v14, s0
	ds_store_2addr_stride64_b32 v4, v18, v19 offset0:16 offset1:32
	ds_store_b32 v2, v16 offset:128
	ds_store_b32 v4, v17 offset:12288
	v_add_f32_e32 v14, v15, v17
	ds_bpermute_b32 v15, v7, v14
	s_waitcnt lgkmcnt(0)
	v_add_f32_e32 v14, v14, v15
	ds_bpermute_b32 v15, v8, v14
	s_waitcnt lgkmcnt(0)
	;; [unrolled: 3-line block ×4, first 2 shown]
	v_add_f32_e32 v14, v14, v15
	ds_bpermute_b32 v15, v11, v14
	s_and_saveexec_b32 s0, vcc_lo
	s_cbranch_execz .LBB14_25
; %bb.24:
	s_waitcnt lgkmcnt(0)
	v_add_f32_e32 v14, v14, v15
	v_add_nc_u32_e32 v0, 0, v0
	ds_store_b32 v0, v14
.LBB14_25:
	s_or_b32 exec_lo, exec_lo, s0
	s_waitcnt lgkmcnt(0)
	s_barrier
	buffer_gl0_inv
	ds_load_b32 v0, v12
	s_and_not1_b32 vcc_lo, exec_lo, s1
	s_lshl_b64 s[0:1], s[2:3], 12
	s_waitcnt lgkmcnt(0)
	ds_bpermute_b32 v7, v7, v0
	s_waitcnt lgkmcnt(0)
	v_add_f32_e32 v0, v0, v7
	ds_bpermute_b32 v7, v8, v0
	s_waitcnt lgkmcnt(0)
	v_add_f32_e32 v0, v0, v7
	;; [unrolled: 3-line block ×5, first 2 shown]
	s_cbranch_vccnz .LBB14_27
; %bb.26:
	s_lshl_b64 s[2:3], s[14:15], 2
	s_delay_alu instid0(SALU_CYCLE_1) | instskip(SKIP_4) | instid1(VALU_DEP_1)
	s_add_u32 s2, s8, s2
	s_addc_u32 s3, s9, s3
	s_load_b32 s2, s[2:3], 0x0
	s_waitcnt lgkmcnt(0)
	v_sub_f32_e32 v7, s2, v13
	v_mul_f32_e32 v8, 0x3fb8aa3b, v7
	s_delay_alu instid0(VALU_DEP_1) | instskip(SKIP_1) | instid1(VALU_DEP_1)
	v_fma_f32 v9, 0x3fb8aa3b, v7, -v8
	v_rndne_f32_e32 v10, v8
	v_sub_f32_e32 v8, v8, v10
	v_cmp_ngt_f32_e32 vcc_lo, 0xc2ce8ed0, v7
	s_delay_alu instid0(VALU_DEP_4) | instskip(NEXT) | instid1(VALU_DEP_1)
	v_fmamk_f32 v9, v7, 0x32a5705f, v9
	v_add_f32_e32 v8, v8, v9
	v_cvt_i32_f32_e32 v9, v10
	s_delay_alu instid0(VALU_DEP_2) | instskip(SKIP_2) | instid1(VALU_DEP_1)
	v_exp_f32_e32 v8, v8
	s_waitcnt_depctr 0xfff
	v_ldexp_f32 v8, v8, v9
	v_cndmask_b32_e32 v8, 0, v8, vcc_lo
	v_cmp_nlt_f32_e32 vcc_lo, 0x42b17218, v7
	s_delay_alu instid0(VALU_DEP_2) | instskip(NEXT) | instid1(VALU_DEP_1)
	v_cndmask_b32_e32 v7, 0x7f800000, v8, vcc_lo
	v_add_f32_e32 v0, v0, v7
.LBB14_27:
	s_delay_alu instid0(VALU_DEP_1) | instskip(SKIP_2) | instid1(VALU_DEP_2)
	v_div_scale_f32 v9, null, v0, v0, 1.0
	v_div_scale_f32 v11, vcc_lo, 1.0, v0, 1.0
	s_lshl_b64 s[0:1], s[0:1], 2
	v_rcp_f32_e32 v10, v9
	s_add_u32 s0, s10, s0
	s_addc_u32 s1, s11, s1
	s_waitcnt_depctr 0xfff
	v_fma_f32 v7, -v9, v10, 1.0
	s_delay_alu instid0(VALU_DEP_1) | instskip(NEXT) | instid1(VALU_DEP_1)
	v_fmac_f32_e32 v10, v7, v10
	v_mul_f32_e32 v12, v11, v10
	s_delay_alu instid0(VALU_DEP_1) | instskip(NEXT) | instid1(VALU_DEP_1)
	v_fma_f32 v7, -v9, v12, v11
	v_fmac_f32_e32 v12, v7, v10
	ds_load_b32 v2, v2 offset:128
	ds_load_2addr_stride64_b32 v[7:8], v4 offset0:16 offset1:32
	ds_load_b32 v4, v4 offset:12288
	v_fma_f32 v9, -v9, v12, v11
	s_delay_alu instid0(VALU_DEP_1) | instskip(NEXT) | instid1(VALU_DEP_1)
	v_div_fmas_f32 v9, v9, v10, v12
	v_div_fixup_f32 v0, v9, v0, 1.0
	s_waitcnt lgkmcnt(1)
	s_delay_alu instid0(VALU_DEP_1)
	v_mul_f32_e32 v7, v0, v7
	v_mul_f32_e32 v2, v0, v2
	;; [unrolled: 1-line block ×3, first 2 shown]
	s_waitcnt lgkmcnt(0)
	v_mul_f32_e32 v0, v0, v4
	s_clause 0x3
	global_store_b32 v5, v2, s[0:1]
	global_store_b32 v1, v7, s[0:1]
	;; [unrolled: 1-line block ×4, first 2 shown]
	s_nop 0
	s_sendmsg sendmsg(MSG_DEALLOC_VGPRS)
	s_endpgm
	.section	.rodata,"a",@progbits
	.p2align	6, 0x0
	.amdhsa_kernel _ZL12soft_max_f32ILb1ELi4096ELi1024EfEvPKfPKT2_S1_Pf15soft_max_params
		.amdhsa_group_segment_fixed_size 0
		.amdhsa_private_segment_fixed_size 0
		.amdhsa_kernarg_size 416
		.amdhsa_user_sgpr_count 13
		.amdhsa_user_sgpr_dispatch_ptr 0
		.amdhsa_user_sgpr_queue_ptr 0
		.amdhsa_user_sgpr_kernarg_segment_ptr 1
		.amdhsa_user_sgpr_dispatch_id 0
		.amdhsa_user_sgpr_private_segment_size 0
		.amdhsa_wavefront_size32 1
		.amdhsa_uses_dynamic_stack 0
		.amdhsa_enable_private_segment 0
		.amdhsa_system_sgpr_workgroup_id_x 1
		.amdhsa_system_sgpr_workgroup_id_y 1
		.amdhsa_system_sgpr_workgroup_id_z 1
		.amdhsa_system_sgpr_workgroup_info 0
		.amdhsa_system_vgpr_workitem_id 0
		.amdhsa_next_free_vgpr 29
		.amdhsa_next_free_sgpr 28
		.amdhsa_reserve_vcc 1
		.amdhsa_float_round_mode_32 0
		.amdhsa_float_round_mode_16_64 0
		.amdhsa_float_denorm_mode_32 3
		.amdhsa_float_denorm_mode_16_64 3
		.amdhsa_dx10_clamp 1
		.amdhsa_ieee_mode 1
		.amdhsa_fp16_overflow 0
		.amdhsa_workgroup_processor_mode 1
		.amdhsa_memory_ordered 1
		.amdhsa_forward_progress 0
		.amdhsa_shared_vgpr_count 0
		.amdhsa_exception_fp_ieee_invalid_op 0
		.amdhsa_exception_fp_denorm_src 0
		.amdhsa_exception_fp_ieee_div_zero 0
		.amdhsa_exception_fp_ieee_overflow 0
		.amdhsa_exception_fp_ieee_underflow 0
		.amdhsa_exception_fp_ieee_inexact 0
		.amdhsa_exception_int_div_zero 0
	.end_amdhsa_kernel
	.section	.text._ZL12soft_max_f32ILb1ELi4096ELi1024EfEvPKfPKT2_S1_Pf15soft_max_params,"axG",@progbits,_ZL12soft_max_f32ILb1ELi4096ELi1024EfEvPKfPKT2_S1_Pf15soft_max_params,comdat
.Lfunc_end14:
	.size	_ZL12soft_max_f32ILb1ELi4096ELi1024EfEvPKfPKT2_S1_Pf15soft_max_params, .Lfunc_end14-_ZL12soft_max_f32ILb1ELi4096ELi1024EfEvPKfPKT2_S1_Pf15soft_max_params
                                        ; -- End function
	.section	.AMDGPU.csdata,"",@progbits
; Kernel info:
; codeLenInByte = 4944
; NumSgprs: 30
; NumVgprs: 29
; ScratchSize: 0
; MemoryBound: 0
; FloatMode: 240
; IeeeMode: 1
; LDSByteSize: 0 bytes/workgroup (compile time only)
; SGPRBlocks: 3
; VGPRBlocks: 3
; NumSGPRsForWavesPerEU: 30
; NumVGPRsForWavesPerEU: 29
; Occupancy: 16
; WaveLimiterHint : 1
; COMPUTE_PGM_RSRC2:SCRATCH_EN: 0
; COMPUTE_PGM_RSRC2:USER_SGPR: 13
; COMPUTE_PGM_RSRC2:TRAP_HANDLER: 0
; COMPUTE_PGM_RSRC2:TGID_X_EN: 1
; COMPUTE_PGM_RSRC2:TGID_Y_EN: 1
; COMPUTE_PGM_RSRC2:TGID_Z_EN: 1
; COMPUTE_PGM_RSRC2:TIDIG_COMP_CNT: 0
	.section	.text._ZL12soft_max_f32ILb1ELi2048ELi1024EfEvPKfPKT2_S1_Pf15soft_max_params,"axG",@progbits,_ZL12soft_max_f32ILb1ELi2048ELi1024EfEvPKfPKT2_S1_Pf15soft_max_params,comdat
	.globl	_ZL12soft_max_f32ILb1ELi2048ELi1024EfEvPKfPKT2_S1_Pf15soft_max_params ; -- Begin function _ZL12soft_max_f32ILb1ELi2048ELi1024EfEvPKfPKT2_S1_Pf15soft_max_params
	.p2align	8
	.type	_ZL12soft_max_f32ILb1ELi2048ELi1024EfEvPKfPKT2_S1_Pf15soft_max_params,@function
_ZL12soft_max_f32ILb1ELi2048ELi1024EfEvPKfPKT2_S1_Pf15soft_max_params: ; @_ZL12soft_max_f32ILb1ELi2048ELi1024EfEvPKfPKT2_S1_Pf15soft_max_params
; %bb.0:
	s_clause 0x1
	s_load_b256 s[16:23], s[0:1], 0x68
	s_load_b64 s[4:5], s[0:1], 0x88
	s_mov_b32 s2, s15
	s_mov_b32 s15, 0
	s_delay_alu instid0(SALU_CYCLE_1) | instskip(SKIP_2) | instid1(SALU_CYCLE_1)
	s_mov_b32 s6, s15
	s_waitcnt lgkmcnt(0)
	s_mov_b32 s7, s23
	s_cmp_lg_u64 s[6:7], 0
	s_cbranch_scc0 .LBB15_10
; %bb.1:
	s_ashr_i32 s6, s23, 31
	s_delay_alu instid0(SALU_CYCLE_1) | instskip(SKIP_2) | instid1(SALU_CYCLE_1)
	s_add_u32 s8, s22, s6
	s_mov_b32 s7, s6
	s_addc_u32 s9, s23, s6
	s_xor_b64 s[6:7], s[8:9], s[6:7]
	s_delay_alu instid0(SALU_CYCLE_1) | instskip(SKIP_3) | instid1(VALU_DEP_1)
	v_cvt_f32_u32_e32 v1, s6
	v_cvt_f32_u32_e32 v2, s7
	s_sub_u32 s9, 0, s6
	s_subb_u32 s10, 0, s7
	v_fmamk_f32 v1, v2, 0x4f800000, v1
	s_delay_alu instid0(VALU_DEP_1) | instskip(SKIP_2) | instid1(VALU_DEP_1)
	v_rcp_f32_e32 v1, v1
	s_waitcnt_depctr 0xfff
	v_mul_f32_e32 v1, 0x5f7ffffc, v1
	v_mul_f32_e32 v2, 0x2f800000, v1
	s_delay_alu instid0(VALU_DEP_1) | instskip(NEXT) | instid1(VALU_DEP_1)
	v_trunc_f32_e32 v2, v2
	v_fmamk_f32 v1, v2, 0xcf800000, v1
	v_cvt_u32_f32_e32 v2, v2
	s_delay_alu instid0(VALU_DEP_2) | instskip(NEXT) | instid1(VALU_DEP_2)
	v_cvt_u32_f32_e32 v1, v1
	v_readfirstlane_b32 s3, v2
	s_delay_alu instid0(VALU_DEP_2) | instskip(NEXT) | instid1(VALU_DEP_2)
	v_readfirstlane_b32 s8, v1
	s_mul_i32 s11, s9, s3
	s_delay_alu instid0(VALU_DEP_1)
	s_mul_hi_u32 s23, s9, s8
	s_mul_i32 s12, s10, s8
	s_add_i32 s11, s23, s11
	s_mul_i32 s24, s9, s8
	s_add_i32 s11, s11, s12
	s_mul_hi_u32 s23, s8, s24
	s_mul_hi_u32 s25, s3, s24
	s_mul_i32 s12, s3, s24
	s_mul_hi_u32 s24, s8, s11
	s_mul_i32 s8, s8, s11
	s_mul_hi_u32 s26, s3, s11
	s_add_u32 s8, s23, s8
	s_addc_u32 s23, 0, s24
	s_add_u32 s8, s8, s12
	s_mul_i32 s11, s3, s11
	s_addc_u32 s8, s23, s25
	s_addc_u32 s12, s26, 0
	s_add_u32 s8, s8, s11
	s_addc_u32 s11, 0, s12
	v_add_co_u32 v1, s8, v1, s8
	s_delay_alu instid0(VALU_DEP_1) | instskip(SKIP_1) | instid1(VALU_DEP_1)
	s_cmp_lg_u32 s8, 0
	s_addc_u32 s3, s3, s11
	v_readfirstlane_b32 s8, v1
	s_mul_i32 s11, s9, s3
	s_delay_alu instid0(VALU_DEP_1)
	s_mul_hi_u32 s12, s9, s8
	s_mul_i32 s10, s10, s8
	s_add_i32 s11, s12, s11
	s_mul_i32 s9, s9, s8
	s_add_i32 s11, s11, s10
	s_mul_hi_u32 s12, s3, s9
	s_mul_i32 s23, s3, s9
	s_mul_hi_u32 s9, s8, s9
	s_mul_hi_u32 s24, s8, s11
	s_mul_i32 s8, s8, s11
	s_mul_hi_u32 s10, s3, s11
	s_add_u32 s8, s9, s8
	s_addc_u32 s9, 0, s24
	s_add_u32 s8, s8, s23
	s_mul_i32 s11, s3, s11
	s_addc_u32 s8, s9, s12
	s_addc_u32 s9, s10, 0
	s_add_u32 s8, s8, s11
	s_addc_u32 s9, 0, s9
	v_add_co_u32 v1, s8, v1, s8
	s_delay_alu instid0(VALU_DEP_1) | instskip(SKIP_1) | instid1(VALU_DEP_1)
	s_cmp_lg_u32 s8, 0
	s_addc_u32 s3, s3, s9
	v_readfirstlane_b32 s8, v1
	s_mul_i32 s9, s14, s3
	s_mul_hi_u32 s3, s14, s3
	s_delay_alu instid0(VALU_DEP_1) | instskip(NEXT) | instid1(SALU_CYCLE_1)
	s_mul_hi_u32 s8, s14, s8
	s_add_u32 s8, s8, s9
	s_addc_u32 s3, 0, s3
	s_add_u32 s8, s8, 0
	s_addc_u32 s3, s3, 0
	s_addc_u32 s8, 0, 0
	s_add_u32 s3, s3, 0
	s_addc_u32 s8, 0, s8
	s_mul_hi_u32 s9, s6, s3
	s_mul_i32 s8, s6, s8
	s_mul_i32 s10, s7, s3
	;; [unrolled: 1-line block ×3, first 2 shown]
	s_add_i32 s8, s9, s8
	v_sub_co_u32 v1, s3, s14, s3
	s_add_i32 s8, s8, s10
	s_delay_alu instid0(SALU_CYCLE_1) | instskip(SKIP_1) | instid1(VALU_DEP_1)
	s_sub_i32 s9, 0, s8
	s_cmp_lg_u32 s3, 0
	v_sub_co_u32 v2, s10, v1, s6
	s_subb_u32 s9, s9, s7
	s_cmp_lg_u32 s10, 0
	s_subb_u32 s11, s9, 0
	s_delay_alu instid0(VALU_DEP_1)
	v_cmp_le_u32_e32 vcc_lo, s6, v2
	s_cmp_ge_u32 s11, s7
	s_cselect_b32 s12, -1, 0
	s_cmp_eq_u32 s11, s7
	v_cndmask_b32_e64 v3, 0, -1, vcc_lo
	s_cselect_b32 vcc_lo, -1, 0
	s_cmp_lg_u32 s10, 0
	v_sub_co_u32 v4, s10, v2, s6
	s_subb_u32 s9, s9, s7
	s_cmp_lg_u32 s10, 0
	v_cndmask_b32_e32 v3, s12, v3, vcc_lo
	s_subb_u32 s9, s9, 0
	s_cmp_lg_u32 s3, 0
	v_cmp_le_u32_e32 vcc_lo, s6, v1
	s_subb_u32 s8, 0, s8
	s_delay_alu instid0(SALU_CYCLE_1)
	s_cmp_ge_u32 s8, s7
	v_cndmask_b32_e64 v5, 0, -1, vcc_lo
	s_cselect_b32 s6, -1, 0
	s_cmp_eq_u32 s8, s7
	v_cmp_ne_u32_e32 vcc_lo, 0, v3
	v_mov_b32_e32 v3, s9
	s_cselect_b32 s3, -1, 0
	s_delay_alu instid0(SALU_CYCLE_1) | instskip(SKIP_1) | instid1(VALU_DEP_3)
	v_cndmask_b32_e64 v5, s6, v5, s3
	v_cndmask_b32_e32 v2, v2, v4, vcc_lo
	v_cndmask_b32_e32 v3, s11, v3, vcc_lo
	s_mov_b32 s3, s15
	s_delay_alu instid0(VALU_DEP_3) | instskip(NEXT) | instid1(VALU_DEP_3)
	v_cmp_ne_u32_e32 vcc_lo, 0, v5
	v_cndmask_b32_e32 v1, v1, v2, vcc_lo
	s_delay_alu instid0(VALU_DEP_3) | instskip(NEXT) | instid1(VALU_DEP_2)
	v_cndmask_b32_e32 v3, s8, v3, vcc_lo
	v_sub_co_u32 v1, vcc_lo, v1, 0
	s_delay_alu instid0(VALU_DEP_2)
	v_subrev_co_ci_u32_e32 v2, vcc_lo, 0, v3, vcc_lo
	s_and_not1_b32 vcc_lo, exec_lo, s3
	s_cbranch_vccnz .LBB15_3
.LBB15_2:
	v_cvt_f32_u32_e32 v1, s22
	s_mov_b32 s7, 0
	s_sub_i32 s6, 0, s22
	s_delay_alu instid0(VALU_DEP_1) | instskip(SKIP_2) | instid1(VALU_DEP_1)
	v_rcp_iflag_f32_e32 v1, v1
	s_waitcnt_depctr 0xfff
	v_mul_f32_e32 v1, 0x4f7ffffe, v1
	v_cvt_u32_f32_e32 v1, v1
	s_delay_alu instid0(VALU_DEP_1) | instskip(NEXT) | instid1(VALU_DEP_1)
	v_readfirstlane_b32 s3, v1
	s_mul_i32 s6, s6, s3
	s_delay_alu instid0(SALU_CYCLE_1) | instskip(NEXT) | instid1(SALU_CYCLE_1)
	s_mul_hi_u32 s6, s3, s6
	s_add_i32 s3, s3, s6
	s_delay_alu instid0(SALU_CYCLE_1) | instskip(NEXT) | instid1(SALU_CYCLE_1)
	s_mul_hi_u32 s3, s14, s3
	s_mul_i32 s3, s3, s22
	s_delay_alu instid0(SALU_CYCLE_1) | instskip(NEXT) | instid1(SALU_CYCLE_1)
	s_sub_i32 s3, s14, s3
	s_sub_i32 s6, s3, s22
	s_cmp_ge_u32 s3, s22
	s_cselect_b32 s3, s6, s3
	s_delay_alu instid0(SALU_CYCLE_1) | instskip(SKIP_2) | instid1(SALU_CYCLE_1)
	s_sub_i32 s6, s3, s22
	s_cmp_ge_u32 s3, s22
	s_cselect_b32 s6, s6, s3
	v_dual_mov_b32 v1, s6 :: v_dual_mov_b32 v2, s7
.LBB15_3:
	s_load_b64 s[22:23], s[0:1], 0x90
	s_mov_b32 s6, 0
	s_mov_b32 s7, s5
	s_delay_alu instid0(SALU_CYCLE_1)
	s_cmp_lg_u64 s[6:7], 0
	s_cbranch_scc0 .LBB15_11
; %bb.4:
	s_ashr_i32 s8, s5, 31
	s_delay_alu instid0(SALU_CYCLE_1) | instskip(SKIP_2) | instid1(SALU_CYCLE_1)
	s_add_u32 s10, s4, s8
	s_mov_b32 s9, s8
	s_addc_u32 s11, s5, s8
	s_xor_b64 s[8:9], s[10:11], s[8:9]
	s_delay_alu instid0(SALU_CYCLE_1) | instskip(SKIP_3) | instid1(VALU_DEP_1)
	v_cvt_f32_u32_e32 v3, s8
	v_cvt_f32_u32_e32 v4, s9
	s_sub_u32 s7, 0, s8
	s_subb_u32 s10, 0, s9
	v_fmamk_f32 v3, v4, 0x4f800000, v3
	s_delay_alu instid0(VALU_DEP_1) | instskip(SKIP_2) | instid1(VALU_DEP_1)
	v_rcp_f32_e32 v3, v3
	s_waitcnt_depctr 0xfff
	v_mul_f32_e32 v3, 0x5f7ffffc, v3
	v_mul_f32_e32 v4, 0x2f800000, v3
	s_delay_alu instid0(VALU_DEP_1) | instskip(NEXT) | instid1(VALU_DEP_1)
	v_trunc_f32_e32 v4, v4
	v_fmamk_f32 v3, v4, 0xcf800000, v3
	v_cvt_u32_f32_e32 v4, v4
	s_delay_alu instid0(VALU_DEP_2) | instskip(NEXT) | instid1(VALU_DEP_2)
	v_cvt_u32_f32_e32 v3, v3
	v_readfirstlane_b32 s3, v4
	s_delay_alu instid0(VALU_DEP_2) | instskip(NEXT) | instid1(VALU_DEP_2)
	v_readfirstlane_b32 s5, v3
	s_mul_i32 s11, s7, s3
	s_delay_alu instid0(VALU_DEP_1)
	s_mul_hi_u32 s24, s7, s5
	s_mul_i32 s12, s10, s5
	s_add_i32 s11, s24, s11
	s_mul_i32 s25, s7, s5
	s_add_i32 s11, s11, s12
	s_mul_hi_u32 s24, s5, s25
	s_mul_hi_u32 s26, s3, s25
	s_mul_i32 s12, s3, s25
	s_mul_hi_u32 s25, s5, s11
	s_mul_i32 s5, s5, s11
	s_mul_hi_u32 s27, s3, s11
	s_add_u32 s5, s24, s5
	s_addc_u32 s24, 0, s25
	s_add_u32 s5, s5, s12
	s_mul_i32 s11, s3, s11
	s_addc_u32 s5, s24, s26
	s_addc_u32 s12, s27, 0
	s_add_u32 s5, s5, s11
	s_addc_u32 s11, 0, s12
	v_add_co_u32 v3, s5, v3, s5
	s_delay_alu instid0(VALU_DEP_1) | instskip(SKIP_1) | instid1(VALU_DEP_1)
	s_cmp_lg_u32 s5, 0
	s_addc_u32 s3, s3, s11
	v_readfirstlane_b32 s5, v3
	s_mul_i32 s11, s7, s3
	s_delay_alu instid0(VALU_DEP_1)
	s_mul_hi_u32 s12, s7, s5
	s_mul_i32 s10, s10, s5
	s_add_i32 s11, s12, s11
	s_mul_i32 s7, s7, s5
	s_add_i32 s11, s11, s10
	s_mul_hi_u32 s12, s3, s7
	s_mul_i32 s24, s3, s7
	s_mul_hi_u32 s7, s5, s7
	s_mul_hi_u32 s25, s5, s11
	s_mul_i32 s5, s5, s11
	s_mul_hi_u32 s10, s3, s11
	s_add_u32 s5, s7, s5
	s_addc_u32 s7, 0, s25
	s_add_u32 s5, s5, s24
	s_mul_i32 s11, s3, s11
	s_addc_u32 s5, s7, s12
	s_addc_u32 s7, s10, 0
	s_add_u32 s5, s5, s11
	s_addc_u32 s7, 0, s7
	v_add_co_u32 v3, s5, v3, s5
	s_delay_alu instid0(VALU_DEP_1) | instskip(SKIP_1) | instid1(VALU_DEP_1)
	s_cmp_lg_u32 s5, 0
	s_addc_u32 s3, s3, s7
	v_readfirstlane_b32 s5, v3
	s_mul_i32 s7, s2, s3
	s_mul_hi_u32 s3, s2, s3
	s_delay_alu instid0(VALU_DEP_1) | instskip(NEXT) | instid1(SALU_CYCLE_1)
	s_mul_hi_u32 s5, s2, s5
	s_add_u32 s5, s5, s7
	s_addc_u32 s3, 0, s3
	s_add_u32 s5, s5, 0
	s_addc_u32 s3, s3, 0
	s_addc_u32 s5, 0, 0
	s_add_u32 s3, s3, 0
	s_addc_u32 s5, 0, s5
	s_mul_hi_u32 s7, s8, s3
	s_mul_i32 s5, s8, s5
	s_mul_i32 s10, s9, s3
	;; [unrolled: 1-line block ×3, first 2 shown]
	s_add_i32 s5, s7, s5
	v_sub_co_u32 v3, s3, s2, s3
	s_add_i32 s5, s5, s10
	s_delay_alu instid0(SALU_CYCLE_1) | instskip(SKIP_1) | instid1(VALU_DEP_1)
	s_sub_i32 s7, 0, s5
	s_cmp_lg_u32 s3, 0
	v_sub_co_u32 v4, s10, v3, s8
	s_subb_u32 s7, s7, s9
	s_cmp_lg_u32 s10, 0
	s_subb_u32 s11, s7, 0
	s_delay_alu instid0(VALU_DEP_1)
	v_cmp_le_u32_e32 vcc_lo, s8, v4
	s_cmp_ge_u32 s11, s9
	s_cselect_b32 s12, -1, 0
	s_cmp_eq_u32 s11, s9
	v_cndmask_b32_e64 v5, 0, -1, vcc_lo
	s_cselect_b32 vcc_lo, -1, 0
	s_cmp_lg_u32 s10, 0
	v_sub_co_u32 v6, s10, v4, s8
	s_subb_u32 s7, s7, s9
	s_cmp_lg_u32 s10, 0
	v_cndmask_b32_e32 v5, s12, v5, vcc_lo
	s_subb_u32 s7, s7, 0
	s_cmp_lg_u32 s3, 0
	v_cmp_le_u32_e32 vcc_lo, s8, v3
	s_subb_u32 s5, 0, s5
	s_delay_alu instid0(SALU_CYCLE_1)
	s_cmp_ge_u32 s5, s9
	v_cndmask_b32_e64 v7, 0, -1, vcc_lo
	s_cselect_b32 s8, -1, 0
	s_cmp_eq_u32 s5, s9
	v_cmp_ne_u32_e32 vcc_lo, 0, v5
	v_mov_b32_e32 v5, s7
	s_cselect_b32 s3, -1, 0
	s_delay_alu instid0(SALU_CYCLE_1) | instskip(SKIP_1) | instid1(VALU_DEP_3)
	v_cndmask_b32_e64 v7, s8, v7, s3
	v_cndmask_b32_e32 v4, v4, v6, vcc_lo
	v_cndmask_b32_e32 v5, s11, v5, vcc_lo
	s_delay_alu instid0(VALU_DEP_3) | instskip(NEXT) | instid1(VALU_DEP_3)
	v_cmp_ne_u32_e32 vcc_lo, 0, v7
	v_cndmask_b32_e32 v3, v3, v4, vcc_lo
	s_delay_alu instid0(VALU_DEP_3) | instskip(NEXT) | instid1(VALU_DEP_2)
	v_cndmask_b32_e32 v5, s5, v5, vcc_lo
	v_sub_co_u32 v3, vcc_lo, v3, 0
	s_delay_alu instid0(VALU_DEP_2)
	v_subrev_co_ci_u32_e32 v4, vcc_lo, 0, v5, vcc_lo
	s_and_not1_b32 vcc_lo, exec_lo, s6
	s_cbranch_vccnz .LBB15_6
.LBB15_5:
	v_cvt_f32_u32_e32 v3, s4
	s_sub_i32 s5, 0, s4
	s_delay_alu instid0(VALU_DEP_1) | instskip(SKIP_2) | instid1(VALU_DEP_1)
	v_rcp_iflag_f32_e32 v3, v3
	s_waitcnt_depctr 0xfff
	v_mul_f32_e32 v3, 0x4f7ffffe, v3
	v_cvt_u32_f32_e32 v3, v3
	s_delay_alu instid0(VALU_DEP_1) | instskip(NEXT) | instid1(VALU_DEP_1)
	v_readfirstlane_b32 s3, v3
	s_mul_i32 s5, s5, s3
	s_delay_alu instid0(SALU_CYCLE_1) | instskip(NEXT) | instid1(SALU_CYCLE_1)
	s_mul_hi_u32 s5, s3, s5
	s_add_i32 s3, s3, s5
	s_delay_alu instid0(SALU_CYCLE_1) | instskip(NEXT) | instid1(SALU_CYCLE_1)
	s_mul_hi_u32 s3, s2, s3
	s_mul_i32 s3, s3, s4
	s_delay_alu instid0(SALU_CYCLE_1) | instskip(NEXT) | instid1(SALU_CYCLE_1)
	s_sub_i32 s3, s2, s3
	s_sub_i32 s5, s3, s4
	s_cmp_ge_u32 s3, s4
	s_cselect_b32 s3, s5, s3
	s_mov_b32 s5, 0
	s_sub_i32 s6, s3, s4
	s_cmp_ge_u32 s3, s4
	s_cselect_b32 s4, s6, s3
	s_delay_alu instid0(SALU_CYCLE_1)
	v_dual_mov_b32 v3, s4 :: v_dual_mov_b32 v4, s5
.LBB15_6:
	s_load_b64 s[24:25], s[0:1], 0xa0
	s_waitcnt lgkmcnt(0)
	v_cmp_le_f32_e64 s3, s23, 0
	v_mov_b32_e32 v6, 1.0
	s_delay_alu instid0(VALU_DEP_2)
	s_and_b32 vcc_lo, exec_lo, s3
	s_cbranch_vccnz .LBB15_8
; %bb.7:
	s_clause 0x1
	s_load_b32 s3, s[0:1], 0x28
	s_load_b64 s[4:5], s[0:1], 0x98
	s_add_i32 s7, s14, 1
	s_waitcnt lgkmcnt(0)
	s_sub_i32 s6, s14, s3
	v_mov_b32_e32 v5, s4
	s_lshl_b32 s6, s6, 1
	s_delay_alu instid0(SALU_CYCLE_1)
	s_or_b32 s4, s6, 1
	s_cmp_lt_u32 s14, s3
	s_cselect_b32 vcc_lo, -1, 0
	v_cndmask_b32_e32 v7, s5, v5, vcc_lo
	s_and_b32 s3, vcc_lo, exec_lo
	s_cselect_b32 s3, s7, s4
	s_mov_b32 s4, 0x3e76c4e1
	v_cvt_f32_i32_e32 v5, s3
	v_cmp_neq_f32_e32 vcc_lo, 1.0, v7
	s_delay_alu instid0(VALU_DEP_2) | instskip(NEXT) | instid1(VALU_DEP_1)
	v_cndmask_b32_e32 v8, 1.0, v5, vcc_lo
	v_cmp_eq_f32_e32 vcc_lo, 0, v8
	v_cndmask_b32_e64 v9, |v7|, 1.0, vcc_lo
	s_delay_alu instid0(VALU_DEP_1) | instskip(NEXT) | instid1(VALU_DEP_1)
	v_frexp_mant_f32_e32 v5, v9
	v_cmp_gt_f32_e64 s3, 0x3f2aaaab, v5
	s_delay_alu instid0(VALU_DEP_1) | instskip(NEXT) | instid1(VALU_DEP_1)
	v_cndmask_b32_e64 v6, 1.0, 2.0, s3
	v_mul_f32_e32 v5, v5, v6
	s_delay_alu instid0(VALU_DEP_1) | instskip(SKIP_1) | instid1(VALU_DEP_2)
	v_add_f32_e32 v6, 1.0, v5
	v_add_f32_e32 v11, -1.0, v5
	v_rcp_f32_e32 v10, v6
	s_waitcnt_depctr 0xfff
	v_mul_f32_e32 v12, v11, v10
	s_delay_alu instid0(VALU_DEP_1) | instskip(NEXT) | instid1(VALU_DEP_1)
	v_dual_add_f32 v13, -1.0, v6 :: v_dual_mul_f32 v14, v6, v12
	v_sub_f32_e32 v5, v5, v13
	v_cndmask_b32_e64 v7, v7, 1.0, vcc_lo
	s_delay_alu instid0(VALU_DEP_3) | instskip(NEXT) | instid1(VALU_DEP_2)
	v_fma_f32 v6, v12, v6, -v14
	v_cmp_eq_f32_e64 s5, 0, v7
	s_delay_alu instid0(VALU_DEP_2) | instskip(NEXT) | instid1(VALU_DEP_1)
	v_fmac_f32_e32 v6, v12, v5
	v_add_f32_e32 v5, v14, v6
	s_delay_alu instid0(VALU_DEP_1) | instskip(NEXT) | instid1(VALU_DEP_1)
	v_dual_sub_f32 v14, v5, v14 :: v_dual_sub_f32 v13, v11, v5
	v_dual_sub_f32 v6, v14, v6 :: v_dual_sub_f32 v11, v11, v13
	s_delay_alu instid0(VALU_DEP_1) | instskip(NEXT) | instid1(VALU_DEP_1)
	v_sub_f32_e32 v5, v11, v5
	v_add_f32_e32 v5, v6, v5
	s_delay_alu instid0(VALU_DEP_1) | instskip(NEXT) | instid1(VALU_DEP_1)
	v_add_f32_e32 v5, v13, v5
	v_mul_f32_e32 v5, v10, v5
	s_delay_alu instid0(VALU_DEP_1) | instskip(NEXT) | instid1(VALU_DEP_1)
	v_add_f32_e32 v10, v12, v5
	v_sub_f32_e32 v6, v10, v12
	v_mul_f32_e32 v11, v10, v10
	s_delay_alu instid0(VALU_DEP_2) | instskip(NEXT) | instid1(VALU_DEP_2)
	v_sub_f32_e32 v12, v5, v6
	v_fma_f32 v13, v10, v10, -v11
	s_delay_alu instid0(VALU_DEP_2) | instskip(NEXT) | instid1(VALU_DEP_1)
	v_add_f32_e32 v5, v12, v12
	v_fmac_f32_e32 v13, v10, v5
	v_cvt_f64_f32_e32 v[5:6], v9
	s_delay_alu instid0(VALU_DEP_2) | instskip(NEXT) | instid1(VALU_DEP_1)
	v_add_f32_e32 v14, v11, v13
	v_fmaak_f32 v15, s4, v14, 0x3e91f4c4
	v_sub_f32_e32 v11, v14, v11
	v_mul_f32_e32 v18, v10, v14
	s_delay_alu instid0(VALU_DEP_3) | instskip(NEXT) | instid1(VALU_DEP_3)
	v_fmaak_f32 v15, v14, v15, 0x3ecccdef
	v_sub_f32_e32 v11, v13, v11
	s_delay_alu instid0(VALU_DEP_2) | instskip(NEXT) | instid1(VALU_DEP_1)
	v_mul_f32_e32 v16, v14, v15
	v_fma_f32 v13, v14, v15, -v16
	s_delay_alu instid0(VALU_DEP_1) | instskip(NEXT) | instid1(VALU_DEP_1)
	v_fmac_f32_e32 v13, v11, v15
	v_add_f32_e32 v15, v16, v13
	v_frexp_exp_i32_f64_e32 v5, v[5:6]
	s_delay_alu instid0(VALU_DEP_2) | instskip(NEXT) | instid1(VALU_DEP_1)
	v_sub_f32_e32 v16, v15, v16
	v_sub_f32_e32 v6, v13, v16
	v_fma_f32 v16, v14, v10, -v18
	s_delay_alu instid0(VALU_DEP_2) | instskip(NEXT) | instid1(VALU_DEP_2)
	v_add_f32_e32 v6, 0x31739010, v6
	v_dual_add_f32 v17, 0x3f2aaaaa, v15 :: v_dual_fmac_f32 v16, v14, v12
	v_ldexp_f32 v12, v12, 1
	s_delay_alu instid0(VALU_DEP_2) | instskip(NEXT) | instid1(VALU_DEP_1)
	v_dual_add_f32 v13, 0xbf2aaaaa, v17 :: v_dual_fmac_f32 v16, v11, v10
	v_sub_f32_e32 v13, v15, v13
	s_delay_alu instid0(VALU_DEP_1) | instskip(NEXT) | instid1(VALU_DEP_3)
	v_add_f32_e32 v6, v6, v13
	v_add_f32_e32 v13, v18, v16
	s_delay_alu instid0(VALU_DEP_2) | instskip(NEXT) | instid1(VALU_DEP_1)
	v_add_f32_e32 v11, v17, v6
	v_sub_f32_e32 v14, v17, v11
	s_delay_alu instid0(VALU_DEP_3) | instskip(SKIP_2) | instid1(VALU_DEP_4)
	v_mul_f32_e32 v15, v13, v11
	v_sub_f32_e32 v17, v13, v18
	v_subrev_co_ci_u32_e64 v5, s3, 0, v5, s3
	v_add_f32_e32 v6, v6, v14
	s_delay_alu instid0(VALU_DEP_4) | instskip(NEXT) | instid1(VALU_DEP_4)
	v_fma_f32 v14, v13, v11, -v15
	v_sub_f32_e32 v16, v16, v17
	s_delay_alu instid0(VALU_DEP_4) | instskip(NEXT) | instid1(VALU_DEP_3)
	v_cvt_f32_i32_e32 v5, v5
	v_fmac_f32_e32 v14, v13, v6
	v_ldexp_f32 v6, v10, 1
	s_delay_alu instid0(VALU_DEP_2) | instskip(NEXT) | instid1(VALU_DEP_1)
	v_fmac_f32_e32 v14, v16, v11
	v_add_f32_e32 v10, v15, v14
	s_delay_alu instid0(VALU_DEP_1) | instskip(NEXT) | instid1(VALU_DEP_1)
	v_add_f32_e32 v11, v6, v10
	v_dual_sub_f32 v6, v11, v6 :: v_dual_sub_f32 v13, v10, v15
	s_delay_alu instid0(VALU_DEP_1) | instskip(NEXT) | instid1(VALU_DEP_2)
	v_sub_f32_e32 v6, v10, v6
	v_sub_f32_e32 v13, v14, v13
	s_delay_alu instid0(VALU_DEP_1) | instskip(NEXT) | instid1(VALU_DEP_1)
	v_add_f32_e32 v10, v12, v13
	v_dual_mul_f32 v15, 0x3f317218, v5 :: v_dual_add_f32 v6, v10, v6
	s_delay_alu instid0(VALU_DEP_1) | instskip(NEXT) | instid1(VALU_DEP_2)
	v_fma_f32 v14, 0x3f317218, v5, -v15
	v_add_f32_e32 v12, v11, v6
	s_delay_alu instid0(VALU_DEP_1) | instskip(NEXT) | instid1(VALU_DEP_1)
	v_sub_f32_e32 v11, v12, v11
	v_dual_fmamk_f32 v5, v5, 0xb102e308, v14 :: v_dual_sub_f32 v6, v6, v11
	s_delay_alu instid0(VALU_DEP_1) | instskip(NEXT) | instid1(VALU_DEP_1)
	v_add_f32_e32 v10, v15, v5
	v_add_f32_e32 v13, v10, v12
	s_delay_alu instid0(VALU_DEP_1) | instskip(NEXT) | instid1(VALU_DEP_1)
	v_dual_sub_f32 v15, v10, v15 :: v_dual_sub_f32 v14, v13, v10
	v_sub_f32_e32 v16, v13, v14
	s_delay_alu instid0(VALU_DEP_2) | instskip(NEXT) | instid1(VALU_DEP_2)
	v_sub_f32_e32 v5, v5, v15
	v_dual_sub_f32 v11, v12, v14 :: v_dual_sub_f32 v10, v10, v16
	s_delay_alu instid0(VALU_DEP_2) | instskip(NEXT) | instid1(VALU_DEP_2)
	v_add_f32_e32 v12, v5, v6
	v_add_f32_e32 v10, v11, v10
	s_delay_alu instid0(VALU_DEP_1) | instskip(NEXT) | instid1(VALU_DEP_1)
	v_add_f32_e32 v10, v12, v10
	v_dual_sub_f32 v11, v12, v5 :: v_dual_add_f32 v14, v13, v10
	s_delay_alu instid0(VALU_DEP_1) | instskip(SKIP_1) | instid1(VALU_DEP_3)
	v_sub_f32_e32 v12, v12, v11
	v_sub_f32_e32 v6, v6, v11
	;; [unrolled: 1-line block ×3, first 2 shown]
	s_delay_alu instid0(VALU_DEP_3) | instskip(NEXT) | instid1(VALU_DEP_1)
	v_sub_f32_e32 v5, v5, v12
	v_add_f32_e32 v5, v6, v5
	s_delay_alu instid0(VALU_DEP_3) | instskip(NEXT) | instid1(VALU_DEP_1)
	v_sub_f32_e32 v6, v10, v11
	v_add_f32_e32 v5, v5, v6
	s_delay_alu instid0(VALU_DEP_1) | instskip(NEXT) | instid1(VALU_DEP_1)
	v_add_f32_e32 v6, v14, v5
	v_mul_f32_e32 v11, v8, v6
	v_sub_f32_e32 v10, v6, v14
	s_delay_alu instid0(VALU_DEP_2) | instskip(NEXT) | instid1(VALU_DEP_2)
	v_fma_f32 v6, v8, v6, -v11
	v_sub_f32_e32 v5, v5, v10
	v_cmp_class_f32_e64 s3, v11, 0x204
	s_delay_alu instid0(VALU_DEP_2) | instskip(NEXT) | instid1(VALU_DEP_1)
	v_fmac_f32_e32 v6, v8, v5
	v_add_f32_e32 v5, v11, v6
	s_delay_alu instid0(VALU_DEP_1) | instskip(NEXT) | instid1(VALU_DEP_1)
	v_cndmask_b32_e64 v10, v5, v11, s3
	v_cmp_eq_f32_e64 s3, 0x42b17218, v10
	s_delay_alu instid0(VALU_DEP_1) | instskip(SKIP_1) | instid1(VALU_DEP_2)
	v_cndmask_b32_e64 v12, 0, 0x37000000, s3
	v_cmp_neq_f32_e64 s3, 0x7f800000, |v10|
	v_sub_f32_e32 v13, v10, v12
	v_trunc_f32_e32 v10, v8
	s_delay_alu instid0(VALU_DEP_2) | instskip(NEXT) | instid1(VALU_DEP_1)
	v_mul_f32_e32 v14, 0x3fb8aa3b, v13
	v_fma_f32 v15, 0x3fb8aa3b, v13, -v14
	v_rndne_f32_e32 v16, v14
	s_delay_alu instid0(VALU_DEP_1) | instskip(NEXT) | instid1(VALU_DEP_1)
	v_dual_fmamk_f32 v15, v13, 0x32a5705f, v15 :: v_dual_sub_f32 v14, v14, v16
	v_add_f32_e32 v14, v14, v15
	v_sub_f32_e32 v5, v5, v11
	v_cvt_i32_f32_e32 v11, v16
	s_delay_alu instid0(VALU_DEP_3) | instskip(NEXT) | instid1(VALU_DEP_2)
	v_exp_f32_e32 v14, v14
	v_sub_f32_e32 v5, v6, v5
	s_delay_alu instid0(VALU_DEP_1)
	v_cndmask_b32_e64 v5, 0, v5, s3
	v_cmp_ngt_f32_e64 s3, 0xc2ce8ed0, v13
	s_waitcnt_depctr 0xfff
	v_ldexp_f32 v6, v14, v11
	v_mul_f32_e32 v11, 0.5, v8
	v_add_f32_e32 v5, v12, v5
	s_delay_alu instid0(VALU_DEP_3) | instskip(NEXT) | instid1(VALU_DEP_3)
	v_cndmask_b32_e64 v6, 0, v6, s3
	v_trunc_f32_e32 v14, v11
	v_cmp_nlt_f32_e64 s3, 0x42b17218, v13
	s_delay_alu instid0(VALU_DEP_2) | instskip(NEXT) | instid1(VALU_DEP_2)
	v_cmp_neq_f32_e64 s4, v14, v11
	v_cndmask_b32_e64 v6, 0x7f800000, v6, s3
	v_cmp_eq_f32_e64 s3, v10, v8
	s_delay_alu instid0(VALU_DEP_2) | instskip(NEXT) | instid1(VALU_DEP_2)
	v_fma_f32 v5, v6, v5, v6
	s_and_b32 vcc_lo, s3, s4
	v_cmp_class_f32_e64 s4, v6, 0x204
	v_cndmask_b32_e32 v10, 1.0, v7, vcc_lo
	s_delay_alu instid0(VALU_DEP_2) | instskip(SKIP_1) | instid1(VALU_DEP_2)
	v_cndmask_b32_e64 v5, v5, v6, s4
	v_cmp_gt_f32_e64 s4, 0, v8
	v_bfi_b32 v5, 0x7fffffff, v5, v10
	s_delay_alu instid0(VALU_DEP_2)
	s_xor_b32 s4, s4, s5
	v_cndmask_b32_e32 v10, 0, v7, vcc_lo
	v_cndmask_b32_e64 v6, 0x7f800000, 0, s4
	v_cmp_eq_f32_e32 vcc_lo, 0x7f800000, v9
	v_cndmask_b32_e64 v8, 0x7fc00000, v5, s3
	v_cmp_gt_f32_e64 s3, 0, v7
	s_delay_alu instid0(VALU_DEP_4) | instskip(SKIP_1) | instid1(VALU_DEP_2)
	v_bfi_b32 v6, 0x7fffffff, v6, v10
	s_or_b32 vcc_lo, vcc_lo, s5
	v_cndmask_b32_e64 v5, v5, v8, s3
	s_delay_alu instid0(VALU_DEP_1) | instskip(SKIP_1) | instid1(VALU_DEP_2)
	v_cndmask_b32_e32 v5, v5, v6, vcc_lo
	v_cmp_o_f32_e32 vcc_lo, v7, v7
	v_cndmask_b32_e32 v6, 0x7fc00000, v5, vcc_lo
.LBB15_8:
	s_load_b256 s[4:11], s[0:1], 0x0
	s_waitcnt lgkmcnt(0)
	s_cmp_lg_u64 s[8:9], 0
	s_cselect_b32 s1, -1, 0
	s_cmp_eq_u64 s[8:9], 0
	s_cbranch_scc1 .LBB15_12
; %bb.9:
	s_lshl_b64 s[26:27], s[14:15], 2
	s_delay_alu instid0(SALU_CYCLE_1)
	s_add_u32 s26, s8, s26
	s_addc_u32 s27, s9, s27
	s_load_b32 s12, s[26:27], 0x0
	s_branch .LBB15_13
.LBB15_10:
                                        ; implicit-def: $vgpr1_vgpr2
	s_branch .LBB15_2
.LBB15_11:
                                        ; implicit-def: $vgpr3_vgpr4
	s_branch .LBB15_5
.LBB15_12:
	s_mov_b32 s12, 0xff800000
.LBB15_13:
	s_mul_i32 s0, s25, s2
	v_mul_lo_u32 v8, v1, s19
	s_add_i32 s0, s0, s14
	v_mul_hi_u32 v9, v1, s18
	s_mul_i32 s0, s0, s24
	v_mul_lo_u32 v2, v2, s18
	s_add_i32 s2, s0, s13
	v_mul_lo_u32 v10, v3, s21
	v_mul_hi_u32 v11, v3, s20
	s_ashr_i32 s3, s2, 31
	v_lshlrev_b32_e32 v5, 2, v0
	s_lshl_b64 s[24:25], s[2:3], 13
	v_add_nc_u32_e32 v8, v9, v8
	s_add_u32 s4, s4, s24
	s_addc_u32 s5, s5, s25
	v_mul_lo_u32 v1, v1, s18
	v_mul_lo_u32 v4, v4, s20
	v_add_nc_u32_e32 v2, v8, v2
	v_add_nc_u32_e32 v8, v11, v10
	v_mov_b32_e32 v10, 0
	global_load_b32 v7, v5, s[4:5]
	s_mul_i32 s0, s17, s13
	s_mul_hi_u32 s17, s16, s13
	v_mul_lo_u32 v3, v3, s20
	s_add_i32 s17, s17, s0
	s_mul_i32 s0, s16, s13
	v_add_nc_u32_e32 v4, v8, v4
	v_add_co_u32 v1, vcc_lo, v1, s0
	v_add_co_ci_u32_e32 v2, vcc_lo, s17, v2, vcc_lo
	s_cmp_lg_u64 s[6:7], 0
	s_delay_alu instid0(VALU_DEP_2) | instskip(SKIP_1) | instid1(VALU_DEP_3)
	v_add_co_u32 v1, vcc_lo, v1, v3
	v_mov_b32_e32 v3, 0
	v_add_co_ci_u32_e32 v2, vcc_lo, v2, v4, vcc_lo
	s_cselect_b32 s0, -1, 0
	s_delay_alu instid0(VALU_DEP_1) | instskip(NEXT) | instid1(VALU_DEP_1)
	v_lshrrev_b64 v[1:2], 2, v[1:2]
	v_cndmask_b32_e64 v2, 0, v2, s0
	s_delay_alu instid0(VALU_DEP_2) | instskip(NEXT) | instid1(VALU_DEP_1)
	v_cndmask_b32_e64 v1, 0, v1, s0
	v_lshlrev_b64 v[1:2], 2, v[1:2]
	s_delay_alu instid0(VALU_DEP_1) | instskip(NEXT) | instid1(VALU_DEP_2)
	v_add_co_u32 v4, vcc_lo, s6, v1
	v_add_co_ci_u32_e32 v8, vcc_lo, s7, v2, vcc_lo
	s_and_b32 vcc_lo, exec_lo, s0
	s_cbranch_vccz .LBB15_15
; %bb.14:
	s_delay_alu instid0(VALU_DEP_2) | instskip(NEXT) | instid1(VALU_DEP_2)
	v_readfirstlane_b32 s6, v4
	v_readfirstlane_b32 s7, v8
	global_load_b32 v1, v5, s[6:7]
	s_waitcnt vmcnt(0)
	v_mul_f32_e32 v3, v6, v1
.LBB15_15:
	v_or_b32_e32 v1, 0x400, v0
	s_waitcnt vmcnt(0)
	s_delay_alu instid0(VALU_DEP_2)
	v_fmac_f32_e32 v3, s22, v7
	v_lshl_add_u32 v2, v0, 2, 0
	s_and_not1_b32 vcc_lo, exec_lo, s0
	v_lshlrev_b32_e32 v1, 2, v1
	ds_store_b32 v2, v3 offset:128
	global_load_b32 v9, v1, s[4:5]
	s_cbranch_vccnz .LBB15_17
; %bb.16:
	v_readfirstlane_b32 s4, v4
	v_readfirstlane_b32 s5, v8
	global_load_b32 v4, v1, s[4:5]
	s_waitcnt vmcnt(0)
	v_mul_f32_e32 v10, v6, v4
.LBB15_17:
	v_mbcnt_lo_u32_b32 v11, -1, 0
	s_delay_alu instid0(VALU_DEP_1) | instskip(SKIP_1) | instid1(VALU_DEP_2)
	v_xor_b32_e32 v4, 16, v11
	v_xor_b32_e32 v7, 8, v11
	v_cmp_gt_i32_e32 vcc_lo, 32, v4
	v_cndmask_b32_e32 v4, v11, v4, vcc_lo
	s_delay_alu instid0(VALU_DEP_3) | instskip(SKIP_2) | instid1(VALU_DEP_3)
	v_cmp_gt_i32_e32 vcc_lo, 32, v7
	s_waitcnt vmcnt(0)
	v_fmac_f32_e32 v10, s22, v9
	v_dual_cndmask_b32 v7, v11, v7 :: v_dual_lshlrev_b32 v4, 2, v4
	s_waitcnt lgkmcnt(0)
	s_delay_alu instid0(VALU_DEP_2) | instskip(SKIP_3) | instid1(VALU_DEP_1)
	v_max3_f32 v3, s12, v3, v10
	ds_bpermute_b32 v6, v4, v3
	s_waitcnt lgkmcnt(0)
	v_max_f32_e32 v8, v6, v6
	v_dual_max_f32 v3, v3, v8 :: v_dual_lshlrev_b32 v6, 2, v7
	v_xor_b32_e32 v8, 4, v11
	ds_bpermute_b32 v7, v6, v3
	v_cmp_gt_i32_e32 vcc_lo, 32, v8
	v_cndmask_b32_e32 v8, v11, v8, vcc_lo
	s_waitcnt lgkmcnt(0)
	v_max_f32_e32 v9, v7, v7
	s_delay_alu instid0(VALU_DEP_2) | instskip(NEXT) | instid1(VALU_DEP_2)
	v_lshlrev_b32_e32 v7, 2, v8
	v_max_f32_e32 v3, v3, v9
	v_xor_b32_e32 v9, 2, v11
	ds_bpermute_b32 v8, v7, v3
	v_cmp_gt_i32_e32 vcc_lo, 32, v9
	s_waitcnt lgkmcnt(0)
	v_dual_cndmask_b32 v9, v11, v9 :: v_dual_max_f32 v12, v8, v8
	s_delay_alu instid0(VALU_DEP_1)
	v_dual_max_f32 v3, v3, v12 :: v_dual_lshlrev_b32 v8, 2, v9
	v_xor_b32_e32 v12, 1, v11
	ds_bpermute_b32 v9, v8, v3
	v_cmp_gt_i32_e32 vcc_lo, 32, v12
	v_cndmask_b32_e32 v11, v11, v12, vcc_lo
	s_waitcnt lgkmcnt(0)
	v_max_f32_e32 v9, v9, v9
	s_delay_alu instid0(VALU_DEP_1)
	v_dual_max_f32 v12, v3, v9 :: v_dual_lshlrev_b32 v9, 2, v11
	v_and_b32_e32 v11, 31, v0
	v_add3_u32 v3, 0, 0x80, v5
	v_lshrrev_b32_e32 v0, 3, v0
	ds_bpermute_b32 v13, v9, v12
	v_cmp_eq_u32_e32 vcc_lo, 0, v11
	ds_store_b32 v3, v10 offset:4096
	s_and_saveexec_b32 s0, vcc_lo
	s_delay_alu instid0(SALU_CYCLE_1)
	s_xor_b32 s0, exec_lo, s0
	s_cbranch_execz .LBB15_19
; %bb.18:
	s_waitcnt lgkmcnt(1)
	v_max_f32_e32 v10, v13, v13
	v_max_f32_e32 v12, v12, v12
	s_delay_alu instid0(VALU_DEP_1)
	v_max_f32_e32 v10, v12, v10
	v_add_nc_u32_e32 v12, 0, v0
	ds_store_b32 v12, v10
.LBB15_19:
	s_or_b32 exec_lo, exec_lo, s0
	v_lshl_add_u32 v10, v11, 2, 0
	s_waitcnt lgkmcnt(0)
	s_barrier
	buffer_gl0_inv
	ds_load_b32 v11, v10
	ds_load_b32 v12, v2 offset:128
	ds_load_b32 v13, v3 offset:4096
	s_waitcnt lgkmcnt(2)
	ds_bpermute_b32 v14, v4, v11
	s_waitcnt lgkmcnt(0)
	v_dual_max_f32 v11, v11, v11 :: v_dual_max_f32 v14, v14, v14
	s_delay_alu instid0(VALU_DEP_1) | instskip(SKIP_3) | instid1(VALU_DEP_1)
	v_max_f32_e32 v11, v11, v14
	ds_bpermute_b32 v14, v6, v11
	s_waitcnt lgkmcnt(0)
	v_max_f32_e32 v14, v14, v14
	v_max_f32_e32 v11, v11, v14
	ds_bpermute_b32 v14, v7, v11
	s_waitcnt lgkmcnt(0)
	v_max_f32_e32 v14, v14, v14
	s_delay_alu instid0(VALU_DEP_1) | instskip(SKIP_3) | instid1(VALU_DEP_1)
	v_max_f32_e32 v11, v11, v14
	ds_bpermute_b32 v14, v8, v11
	s_waitcnt lgkmcnt(0)
	v_max_f32_e32 v14, v14, v14
	v_max_f32_e32 v11, v11, v14
	ds_bpermute_b32 v14, v9, v11
	s_waitcnt lgkmcnt(0)
	v_max_f32_e32 v14, v14, v14
	s_delay_alu instid0(VALU_DEP_1) | instskip(NEXT) | instid1(VALU_DEP_1)
	v_max_f32_e32 v11, v11, v14
	v_sub_f32_e32 v12, v12, v11
	s_delay_alu instid0(VALU_DEP_1) | instskip(NEXT) | instid1(VALU_DEP_1)
	v_mul_f32_e32 v14, 0x3fb8aa3b, v12
	v_fma_f32 v16, 0x3fb8aa3b, v12, -v14
	v_rndne_f32_e32 v17, v14
	s_delay_alu instid0(VALU_DEP_2) | instskip(NEXT) | instid1(VALU_DEP_2)
	v_fmac_f32_e32 v16, 0x32a5705f, v12
	v_sub_f32_e32 v14, v14, v17
	s_delay_alu instid0(VALU_DEP_1) | instskip(SKIP_1) | instid1(VALU_DEP_2)
	v_dual_add_f32 v14, v14, v16 :: v_dual_sub_f32 v13, v13, v11
	v_cvt_i32_f32_e32 v16, v17
	v_exp_f32_e32 v14, v14
	s_delay_alu instid0(VALU_DEP_2) | instskip(NEXT) | instid1(VALU_DEP_1)
	v_mul_f32_e32 v15, 0x3fb8aa3b, v13
	v_fma_f32 v18, 0x3fb8aa3b, v13, -v15
	v_rndne_f32_e32 v19, v15
	s_waitcnt_depctr 0xfff
	v_ldexp_f32 v14, v14, v16
	v_dual_fmac_f32 v18, 0x32a5705f, v13 :: v_dual_sub_f32 v15, v15, v19
	v_cvt_i32_f32_e32 v17, v19
	s_delay_alu instid0(VALU_DEP_2) | instskip(SKIP_1) | instid1(VALU_DEP_2)
	v_add_f32_e32 v15, v15, v18
	v_cmp_ngt_f32_e64 s0, 0xc2ce8ed0, v12
	v_exp_f32_e32 v15, v15
	s_delay_alu instid0(VALU_DEP_1) | instskip(SKIP_3) | instid1(VALU_DEP_1)
	v_cndmask_b32_e64 v14, 0, v14, s0
	v_cmp_ngt_f32_e64 s0, 0xc2ce8ed0, v13
	s_waitcnt_depctr 0xfff
	v_ldexp_f32 v15, v15, v17
	v_cndmask_b32_e64 v15, 0, v15, s0
	v_cmp_nlt_f32_e64 s0, 0x42b17218, v12
	s_delay_alu instid0(VALU_DEP_1) | instskip(SKIP_1) | instid1(VALU_DEP_1)
	v_cndmask_b32_e64 v14, 0x7f800000, v14, s0
	v_cmp_nlt_f32_e64 s0, 0x42b17218, v13
	v_cndmask_b32_e64 v15, 0x7f800000, v15, s0
	ds_store_b32 v2, v14 offset:128
	ds_store_b32 v3, v15 offset:4096
	v_add_f32_e32 v12, v14, v15
	ds_bpermute_b32 v13, v4, v12
	s_waitcnt lgkmcnt(0)
	v_add_f32_e32 v12, v12, v13
	ds_bpermute_b32 v13, v6, v12
	s_waitcnt lgkmcnt(0)
	;; [unrolled: 3-line block ×4, first 2 shown]
	v_add_f32_e32 v12, v12, v13
	ds_bpermute_b32 v13, v9, v12
	s_and_saveexec_b32 s0, vcc_lo
	s_cbranch_execz .LBB15_21
; %bb.20:
	s_waitcnt lgkmcnt(0)
	v_add_f32_e32 v12, v12, v13
	v_add_nc_u32_e32 v0, 0, v0
	ds_store_b32 v0, v12
.LBB15_21:
	s_or_b32 exec_lo, exec_lo, s0
	s_waitcnt lgkmcnt(0)
	s_barrier
	buffer_gl0_inv
	ds_load_b32 v0, v10
	s_and_not1_b32 vcc_lo, exec_lo, s1
	s_lshl_b64 s[0:1], s[2:3], 11
	s_waitcnt lgkmcnt(0)
	ds_bpermute_b32 v4, v4, v0
	s_waitcnt lgkmcnt(0)
	v_add_f32_e32 v0, v0, v4
	ds_bpermute_b32 v4, v6, v0
	s_waitcnt lgkmcnt(0)
	v_add_f32_e32 v0, v0, v4
	;; [unrolled: 3-line block ×5, first 2 shown]
	s_cbranch_vccnz .LBB15_23
; %bb.22:
	s_lshl_b64 s[2:3], s[14:15], 2
	s_delay_alu instid0(SALU_CYCLE_1) | instskip(SKIP_4) | instid1(VALU_DEP_1)
	s_add_u32 s2, s8, s2
	s_addc_u32 s3, s9, s3
	s_load_b32 s2, s[2:3], 0x0
	s_waitcnt lgkmcnt(0)
	v_sub_f32_e32 v4, s2, v11
	v_mul_f32_e32 v6, 0x3fb8aa3b, v4
	v_cmp_ngt_f32_e32 vcc_lo, 0xc2ce8ed0, v4
	s_delay_alu instid0(VALU_DEP_2) | instskip(SKIP_1) | instid1(VALU_DEP_1)
	v_fma_f32 v7, 0x3fb8aa3b, v4, -v6
	v_rndne_f32_e32 v8, v6
	v_dual_fmamk_f32 v7, v4, 0x32a5705f, v7 :: v_dual_sub_f32 v6, v6, v8
	s_delay_alu instid0(VALU_DEP_1) | instskip(SKIP_1) | instid1(VALU_DEP_2)
	v_add_f32_e32 v6, v6, v7
	v_cvt_i32_f32_e32 v7, v8
	v_exp_f32_e32 v6, v6
	s_waitcnt_depctr 0xfff
	v_ldexp_f32 v6, v6, v7
	s_delay_alu instid0(VALU_DEP_1) | instskip(SKIP_1) | instid1(VALU_DEP_2)
	v_cndmask_b32_e32 v6, 0, v6, vcc_lo
	v_cmp_nlt_f32_e32 vcc_lo, 0x42b17218, v4
	v_cndmask_b32_e32 v4, 0x7f800000, v6, vcc_lo
	s_delay_alu instid0(VALU_DEP_1)
	v_add_f32_e32 v0, v0, v4
.LBB15_23:
	s_delay_alu instid0(VALU_DEP_1)
	v_div_scale_f32 v4, null, v0, v0, 1.0
	v_div_scale_f32 v8, vcc_lo, 1.0, v0, 1.0
	ds_load_b32 v2, v2 offset:128
	ds_load_b32 v3, v3 offset:4096
	v_rcp_f32_e32 v6, v4
	s_lshl_b64 s[0:1], s[0:1], 2
	s_delay_alu instid0(SALU_CYCLE_1) | instskip(SKIP_3) | instid1(VALU_DEP_1)
	s_add_u32 s0, s10, s0
	s_addc_u32 s1, s11, s1
	s_waitcnt_depctr 0xfff
	v_fma_f32 v7, -v4, v6, 1.0
	v_fmac_f32_e32 v6, v7, v6
	s_delay_alu instid0(VALU_DEP_1) | instskip(NEXT) | instid1(VALU_DEP_1)
	v_mul_f32_e32 v7, v8, v6
	v_fma_f32 v9, -v4, v7, v8
	s_delay_alu instid0(VALU_DEP_1) | instskip(NEXT) | instid1(VALU_DEP_1)
	v_fmac_f32_e32 v7, v9, v6
	v_fma_f32 v4, -v4, v7, v8
	s_delay_alu instid0(VALU_DEP_1) | instskip(NEXT) | instid1(VALU_DEP_1)
	v_div_fmas_f32 v4, v4, v6, v7
	v_div_fixup_f32 v0, v4, v0, 1.0
	s_waitcnt lgkmcnt(1)
	s_delay_alu instid0(VALU_DEP_1)
	v_mul_f32_e32 v2, v0, v2
	s_waitcnt lgkmcnt(0)
	v_mul_f32_e32 v0, v0, v3
	s_clause 0x1
	global_store_b32 v5, v2, s[0:1]
	global_store_b32 v1, v0, s[0:1]
	s_nop 0
	s_sendmsg sendmsg(MSG_DEALLOC_VGPRS)
	s_endpgm
	.section	.rodata,"a",@progbits
	.p2align	6, 0x0
	.amdhsa_kernel _ZL12soft_max_f32ILb1ELi2048ELi1024EfEvPKfPKT2_S1_Pf15soft_max_params
		.amdhsa_group_segment_fixed_size 0
		.amdhsa_private_segment_fixed_size 0
		.amdhsa_kernarg_size 416
		.amdhsa_user_sgpr_count 13
		.amdhsa_user_sgpr_dispatch_ptr 0
		.amdhsa_user_sgpr_queue_ptr 0
		.amdhsa_user_sgpr_kernarg_segment_ptr 1
		.amdhsa_user_sgpr_dispatch_id 0
		.amdhsa_user_sgpr_private_segment_size 0
		.amdhsa_wavefront_size32 1
		.amdhsa_uses_dynamic_stack 0
		.amdhsa_enable_private_segment 0
		.amdhsa_system_sgpr_workgroup_id_x 1
		.amdhsa_system_sgpr_workgroup_id_y 1
		.amdhsa_system_sgpr_workgroup_id_z 1
		.amdhsa_system_sgpr_workgroup_info 0
		.amdhsa_system_vgpr_workitem_id 0
		.amdhsa_next_free_vgpr 20
		.amdhsa_next_free_sgpr 28
		.amdhsa_reserve_vcc 1
		.amdhsa_float_round_mode_32 0
		.amdhsa_float_round_mode_16_64 0
		.amdhsa_float_denorm_mode_32 3
		.amdhsa_float_denorm_mode_16_64 3
		.amdhsa_dx10_clamp 1
		.amdhsa_ieee_mode 1
		.amdhsa_fp16_overflow 0
		.amdhsa_workgroup_processor_mode 1
		.amdhsa_memory_ordered 1
		.amdhsa_forward_progress 0
		.amdhsa_shared_vgpr_count 0
		.amdhsa_exception_fp_ieee_invalid_op 0
		.amdhsa_exception_fp_denorm_src 0
		.amdhsa_exception_fp_ieee_div_zero 0
		.amdhsa_exception_fp_ieee_overflow 0
		.amdhsa_exception_fp_ieee_underflow 0
		.amdhsa_exception_fp_ieee_inexact 0
		.amdhsa_exception_int_div_zero 0
	.end_amdhsa_kernel
	.section	.text._ZL12soft_max_f32ILb1ELi2048ELi1024EfEvPKfPKT2_S1_Pf15soft_max_params,"axG",@progbits,_ZL12soft_max_f32ILb1ELi2048ELi1024EfEvPKfPKT2_S1_Pf15soft_max_params,comdat
.Lfunc_end15:
	.size	_ZL12soft_max_f32ILb1ELi2048ELi1024EfEvPKfPKT2_S1_Pf15soft_max_params, .Lfunc_end15-_ZL12soft_max_f32ILb1ELi2048ELi1024EfEvPKfPKT2_S1_Pf15soft_max_params
                                        ; -- End function
	.section	.AMDGPU.csdata,"",@progbits
; Kernel info:
; codeLenInByte = 4492
; NumSgprs: 30
; NumVgprs: 20
; ScratchSize: 0
; MemoryBound: 0
; FloatMode: 240
; IeeeMode: 1
; LDSByteSize: 0 bytes/workgroup (compile time only)
; SGPRBlocks: 3
; VGPRBlocks: 2
; NumSGPRsForWavesPerEU: 30
; NumVGPRsForWavesPerEU: 20
; Occupancy: 16
; WaveLimiterHint : 1
; COMPUTE_PGM_RSRC2:SCRATCH_EN: 0
; COMPUTE_PGM_RSRC2:USER_SGPR: 13
; COMPUTE_PGM_RSRC2:TRAP_HANDLER: 0
; COMPUTE_PGM_RSRC2:TGID_X_EN: 1
; COMPUTE_PGM_RSRC2:TGID_Y_EN: 1
; COMPUTE_PGM_RSRC2:TGID_Z_EN: 1
; COMPUTE_PGM_RSRC2:TIDIG_COMP_CNT: 0
	.section	.text._ZL12soft_max_f32ILb1ELi1024ELi1024EfEvPKfPKT2_S1_Pf15soft_max_params,"axG",@progbits,_ZL12soft_max_f32ILb1ELi1024ELi1024EfEvPKfPKT2_S1_Pf15soft_max_params,comdat
	.globl	_ZL12soft_max_f32ILb1ELi1024ELi1024EfEvPKfPKT2_S1_Pf15soft_max_params ; -- Begin function _ZL12soft_max_f32ILb1ELi1024ELi1024EfEvPKfPKT2_S1_Pf15soft_max_params
	.p2align	8
	.type	_ZL12soft_max_f32ILb1ELi1024ELi1024EfEvPKfPKT2_S1_Pf15soft_max_params,@function
_ZL12soft_max_f32ILb1ELi1024ELi1024EfEvPKfPKT2_S1_Pf15soft_max_params: ; @_ZL12soft_max_f32ILb1ELi1024ELi1024EfEvPKfPKT2_S1_Pf15soft_max_params
; %bb.0:
	s_clause 0x1
	s_load_b256 s[16:23], s[0:1], 0x68
	s_load_b64 s[4:5], s[0:1], 0x88
	s_mov_b32 s2, s15
	s_mov_b32 s15, 0
	s_delay_alu instid0(SALU_CYCLE_1) | instskip(SKIP_2) | instid1(SALU_CYCLE_1)
	s_mov_b32 s6, s15
	s_waitcnt lgkmcnt(0)
	s_mov_b32 s7, s23
	s_cmp_lg_u64 s[6:7], 0
	s_cbranch_scc0 .LBB16_10
; %bb.1:
	s_ashr_i32 s6, s23, 31
	s_delay_alu instid0(SALU_CYCLE_1) | instskip(SKIP_2) | instid1(SALU_CYCLE_1)
	s_add_u32 s8, s22, s6
	s_mov_b32 s7, s6
	s_addc_u32 s9, s23, s6
	s_xor_b64 s[6:7], s[8:9], s[6:7]
	s_delay_alu instid0(SALU_CYCLE_1) | instskip(SKIP_3) | instid1(VALU_DEP_1)
	v_cvt_f32_u32_e32 v1, s6
	v_cvt_f32_u32_e32 v2, s7
	s_sub_u32 s9, 0, s6
	s_subb_u32 s10, 0, s7
	v_fmamk_f32 v1, v2, 0x4f800000, v1
	s_delay_alu instid0(VALU_DEP_1) | instskip(SKIP_2) | instid1(VALU_DEP_1)
	v_rcp_f32_e32 v1, v1
	s_waitcnt_depctr 0xfff
	v_mul_f32_e32 v1, 0x5f7ffffc, v1
	v_mul_f32_e32 v2, 0x2f800000, v1
	s_delay_alu instid0(VALU_DEP_1) | instskip(NEXT) | instid1(VALU_DEP_1)
	v_trunc_f32_e32 v2, v2
	v_fmamk_f32 v1, v2, 0xcf800000, v1
	v_cvt_u32_f32_e32 v2, v2
	s_delay_alu instid0(VALU_DEP_2) | instskip(NEXT) | instid1(VALU_DEP_2)
	v_cvt_u32_f32_e32 v1, v1
	v_readfirstlane_b32 s3, v2
	s_delay_alu instid0(VALU_DEP_2) | instskip(NEXT) | instid1(VALU_DEP_2)
	v_readfirstlane_b32 s8, v1
	s_mul_i32 s11, s9, s3
	s_delay_alu instid0(VALU_DEP_1)
	s_mul_hi_u32 s23, s9, s8
	s_mul_i32 s12, s10, s8
	s_add_i32 s11, s23, s11
	s_mul_i32 s24, s9, s8
	s_add_i32 s11, s11, s12
	s_mul_hi_u32 s23, s8, s24
	s_mul_hi_u32 s25, s3, s24
	s_mul_i32 s12, s3, s24
	s_mul_hi_u32 s24, s8, s11
	s_mul_i32 s8, s8, s11
	s_mul_hi_u32 s26, s3, s11
	s_add_u32 s8, s23, s8
	s_addc_u32 s23, 0, s24
	s_add_u32 s8, s8, s12
	s_mul_i32 s11, s3, s11
	s_addc_u32 s8, s23, s25
	s_addc_u32 s12, s26, 0
	s_add_u32 s8, s8, s11
	s_addc_u32 s11, 0, s12
	v_add_co_u32 v1, s8, v1, s8
	s_delay_alu instid0(VALU_DEP_1) | instskip(SKIP_1) | instid1(VALU_DEP_1)
	s_cmp_lg_u32 s8, 0
	s_addc_u32 s3, s3, s11
	v_readfirstlane_b32 s8, v1
	s_mul_i32 s11, s9, s3
	s_delay_alu instid0(VALU_DEP_1)
	s_mul_hi_u32 s12, s9, s8
	s_mul_i32 s10, s10, s8
	s_add_i32 s11, s12, s11
	s_mul_i32 s9, s9, s8
	s_add_i32 s11, s11, s10
	s_mul_hi_u32 s12, s3, s9
	s_mul_i32 s23, s3, s9
	s_mul_hi_u32 s9, s8, s9
	s_mul_hi_u32 s24, s8, s11
	s_mul_i32 s8, s8, s11
	s_mul_hi_u32 s10, s3, s11
	s_add_u32 s8, s9, s8
	s_addc_u32 s9, 0, s24
	s_add_u32 s8, s8, s23
	s_mul_i32 s11, s3, s11
	s_addc_u32 s8, s9, s12
	s_addc_u32 s9, s10, 0
	s_add_u32 s8, s8, s11
	s_addc_u32 s9, 0, s9
	v_add_co_u32 v1, s8, v1, s8
	s_delay_alu instid0(VALU_DEP_1) | instskip(SKIP_1) | instid1(VALU_DEP_1)
	s_cmp_lg_u32 s8, 0
	s_addc_u32 s3, s3, s9
	v_readfirstlane_b32 s8, v1
	s_mul_i32 s9, s14, s3
	s_mul_hi_u32 s3, s14, s3
	s_delay_alu instid0(VALU_DEP_1) | instskip(NEXT) | instid1(SALU_CYCLE_1)
	s_mul_hi_u32 s8, s14, s8
	s_add_u32 s8, s8, s9
	s_addc_u32 s3, 0, s3
	s_add_u32 s8, s8, 0
	s_addc_u32 s3, s3, 0
	s_addc_u32 s8, 0, 0
	s_add_u32 s3, s3, 0
	s_addc_u32 s8, 0, s8
	s_mul_hi_u32 s9, s6, s3
	s_mul_i32 s8, s6, s8
	s_mul_i32 s10, s7, s3
	;; [unrolled: 1-line block ×3, first 2 shown]
	s_add_i32 s8, s9, s8
	v_sub_co_u32 v1, s3, s14, s3
	s_add_i32 s8, s8, s10
	s_delay_alu instid0(SALU_CYCLE_1) | instskip(SKIP_1) | instid1(VALU_DEP_1)
	s_sub_i32 s9, 0, s8
	s_cmp_lg_u32 s3, 0
	v_sub_co_u32 v2, s10, v1, s6
	s_subb_u32 s9, s9, s7
	s_cmp_lg_u32 s10, 0
	s_subb_u32 s11, s9, 0
	s_delay_alu instid0(VALU_DEP_1)
	v_cmp_le_u32_e32 vcc_lo, s6, v2
	s_cmp_ge_u32 s11, s7
	s_cselect_b32 s12, -1, 0
	s_cmp_eq_u32 s11, s7
	v_cndmask_b32_e64 v3, 0, -1, vcc_lo
	s_cselect_b32 vcc_lo, -1, 0
	s_cmp_lg_u32 s10, 0
	v_sub_co_u32 v4, s10, v2, s6
	s_subb_u32 s9, s9, s7
	s_cmp_lg_u32 s10, 0
	v_cndmask_b32_e32 v3, s12, v3, vcc_lo
	s_subb_u32 s9, s9, 0
	s_cmp_lg_u32 s3, 0
	v_cmp_le_u32_e32 vcc_lo, s6, v1
	s_subb_u32 s8, 0, s8
	s_delay_alu instid0(SALU_CYCLE_1)
	s_cmp_ge_u32 s8, s7
	v_cndmask_b32_e64 v5, 0, -1, vcc_lo
	s_cselect_b32 s6, -1, 0
	s_cmp_eq_u32 s8, s7
	v_cmp_ne_u32_e32 vcc_lo, 0, v3
	v_mov_b32_e32 v3, s9
	s_cselect_b32 s3, -1, 0
	s_delay_alu instid0(SALU_CYCLE_1) | instskip(SKIP_1) | instid1(VALU_DEP_3)
	v_cndmask_b32_e64 v5, s6, v5, s3
	v_cndmask_b32_e32 v2, v2, v4, vcc_lo
	v_cndmask_b32_e32 v3, s11, v3, vcc_lo
	s_mov_b32 s3, s15
	s_delay_alu instid0(VALU_DEP_3) | instskip(NEXT) | instid1(VALU_DEP_3)
	v_cmp_ne_u32_e32 vcc_lo, 0, v5
	v_cndmask_b32_e32 v1, v1, v2, vcc_lo
	s_delay_alu instid0(VALU_DEP_3) | instskip(NEXT) | instid1(VALU_DEP_2)
	v_cndmask_b32_e32 v3, s8, v3, vcc_lo
	v_sub_co_u32 v1, vcc_lo, v1, 0
	s_delay_alu instid0(VALU_DEP_2)
	v_subrev_co_ci_u32_e32 v2, vcc_lo, 0, v3, vcc_lo
	s_and_not1_b32 vcc_lo, exec_lo, s3
	s_cbranch_vccnz .LBB16_3
.LBB16_2:
	v_cvt_f32_u32_e32 v1, s22
	s_mov_b32 s7, 0
	s_sub_i32 s6, 0, s22
	s_delay_alu instid0(VALU_DEP_1) | instskip(SKIP_2) | instid1(VALU_DEP_1)
	v_rcp_iflag_f32_e32 v1, v1
	s_waitcnt_depctr 0xfff
	v_mul_f32_e32 v1, 0x4f7ffffe, v1
	v_cvt_u32_f32_e32 v1, v1
	s_delay_alu instid0(VALU_DEP_1) | instskip(NEXT) | instid1(VALU_DEP_1)
	v_readfirstlane_b32 s3, v1
	s_mul_i32 s6, s6, s3
	s_delay_alu instid0(SALU_CYCLE_1) | instskip(NEXT) | instid1(SALU_CYCLE_1)
	s_mul_hi_u32 s6, s3, s6
	s_add_i32 s3, s3, s6
	s_delay_alu instid0(SALU_CYCLE_1) | instskip(NEXT) | instid1(SALU_CYCLE_1)
	s_mul_hi_u32 s3, s14, s3
	s_mul_i32 s3, s3, s22
	s_delay_alu instid0(SALU_CYCLE_1) | instskip(NEXT) | instid1(SALU_CYCLE_1)
	s_sub_i32 s3, s14, s3
	s_sub_i32 s6, s3, s22
	s_cmp_ge_u32 s3, s22
	s_cselect_b32 s3, s6, s3
	s_delay_alu instid0(SALU_CYCLE_1) | instskip(SKIP_2) | instid1(SALU_CYCLE_1)
	s_sub_i32 s6, s3, s22
	s_cmp_ge_u32 s3, s22
	s_cselect_b32 s6, s6, s3
	v_dual_mov_b32 v1, s6 :: v_dual_mov_b32 v2, s7
.LBB16_3:
	s_load_b64 s[22:23], s[0:1], 0x90
	s_mov_b32 s6, 0
	s_mov_b32 s7, s5
	s_delay_alu instid0(SALU_CYCLE_1)
	s_cmp_lg_u64 s[6:7], 0
	s_cbranch_scc0 .LBB16_11
; %bb.4:
	s_ashr_i32 s8, s5, 31
	s_delay_alu instid0(SALU_CYCLE_1) | instskip(SKIP_2) | instid1(SALU_CYCLE_1)
	s_add_u32 s10, s4, s8
	s_mov_b32 s9, s8
	s_addc_u32 s11, s5, s8
	s_xor_b64 s[8:9], s[10:11], s[8:9]
	s_delay_alu instid0(SALU_CYCLE_1) | instskip(SKIP_3) | instid1(VALU_DEP_1)
	v_cvt_f32_u32_e32 v3, s8
	v_cvt_f32_u32_e32 v4, s9
	s_sub_u32 s7, 0, s8
	s_subb_u32 s10, 0, s9
	v_fmamk_f32 v3, v4, 0x4f800000, v3
	s_delay_alu instid0(VALU_DEP_1) | instskip(SKIP_2) | instid1(VALU_DEP_1)
	v_rcp_f32_e32 v3, v3
	s_waitcnt_depctr 0xfff
	v_mul_f32_e32 v3, 0x5f7ffffc, v3
	v_mul_f32_e32 v4, 0x2f800000, v3
	s_delay_alu instid0(VALU_DEP_1) | instskip(NEXT) | instid1(VALU_DEP_1)
	v_trunc_f32_e32 v4, v4
	v_fmamk_f32 v3, v4, 0xcf800000, v3
	v_cvt_u32_f32_e32 v4, v4
	s_delay_alu instid0(VALU_DEP_2) | instskip(NEXT) | instid1(VALU_DEP_2)
	v_cvt_u32_f32_e32 v3, v3
	v_readfirstlane_b32 s3, v4
	s_delay_alu instid0(VALU_DEP_2) | instskip(NEXT) | instid1(VALU_DEP_2)
	v_readfirstlane_b32 s5, v3
	s_mul_i32 s11, s7, s3
	s_delay_alu instid0(VALU_DEP_1)
	s_mul_hi_u32 s24, s7, s5
	s_mul_i32 s12, s10, s5
	s_add_i32 s11, s24, s11
	s_mul_i32 s25, s7, s5
	s_add_i32 s11, s11, s12
	s_mul_hi_u32 s24, s5, s25
	s_mul_hi_u32 s26, s3, s25
	s_mul_i32 s12, s3, s25
	s_mul_hi_u32 s25, s5, s11
	s_mul_i32 s5, s5, s11
	s_mul_hi_u32 s27, s3, s11
	s_add_u32 s5, s24, s5
	s_addc_u32 s24, 0, s25
	s_add_u32 s5, s5, s12
	s_mul_i32 s11, s3, s11
	s_addc_u32 s5, s24, s26
	s_addc_u32 s12, s27, 0
	s_add_u32 s5, s5, s11
	s_addc_u32 s11, 0, s12
	v_add_co_u32 v3, s5, v3, s5
	s_delay_alu instid0(VALU_DEP_1) | instskip(SKIP_1) | instid1(VALU_DEP_1)
	s_cmp_lg_u32 s5, 0
	s_addc_u32 s3, s3, s11
	v_readfirstlane_b32 s5, v3
	s_mul_i32 s11, s7, s3
	s_delay_alu instid0(VALU_DEP_1)
	s_mul_hi_u32 s12, s7, s5
	s_mul_i32 s10, s10, s5
	s_add_i32 s11, s12, s11
	s_mul_i32 s7, s7, s5
	s_add_i32 s11, s11, s10
	s_mul_hi_u32 s12, s3, s7
	s_mul_i32 s24, s3, s7
	s_mul_hi_u32 s7, s5, s7
	s_mul_hi_u32 s25, s5, s11
	s_mul_i32 s5, s5, s11
	s_mul_hi_u32 s10, s3, s11
	s_add_u32 s5, s7, s5
	s_addc_u32 s7, 0, s25
	s_add_u32 s5, s5, s24
	s_mul_i32 s11, s3, s11
	s_addc_u32 s5, s7, s12
	s_addc_u32 s7, s10, 0
	s_add_u32 s5, s5, s11
	s_addc_u32 s7, 0, s7
	v_add_co_u32 v3, s5, v3, s5
	s_delay_alu instid0(VALU_DEP_1) | instskip(SKIP_1) | instid1(VALU_DEP_1)
	s_cmp_lg_u32 s5, 0
	s_addc_u32 s3, s3, s7
	v_readfirstlane_b32 s5, v3
	s_mul_i32 s7, s2, s3
	s_mul_hi_u32 s3, s2, s3
	s_delay_alu instid0(VALU_DEP_1) | instskip(NEXT) | instid1(SALU_CYCLE_1)
	s_mul_hi_u32 s5, s2, s5
	s_add_u32 s5, s5, s7
	s_addc_u32 s3, 0, s3
	s_add_u32 s5, s5, 0
	s_addc_u32 s3, s3, 0
	s_addc_u32 s5, 0, 0
	s_add_u32 s3, s3, 0
	s_addc_u32 s5, 0, s5
	s_mul_hi_u32 s7, s8, s3
	s_mul_i32 s5, s8, s5
	s_mul_i32 s10, s9, s3
	;; [unrolled: 1-line block ×3, first 2 shown]
	s_add_i32 s5, s7, s5
	v_sub_co_u32 v3, s3, s2, s3
	s_add_i32 s5, s5, s10
	s_delay_alu instid0(SALU_CYCLE_1) | instskip(SKIP_1) | instid1(VALU_DEP_1)
	s_sub_i32 s7, 0, s5
	s_cmp_lg_u32 s3, 0
	v_sub_co_u32 v4, s10, v3, s8
	s_subb_u32 s7, s7, s9
	s_cmp_lg_u32 s10, 0
	s_subb_u32 s11, s7, 0
	s_delay_alu instid0(VALU_DEP_1)
	v_cmp_le_u32_e32 vcc_lo, s8, v4
	s_cmp_ge_u32 s11, s9
	s_cselect_b32 s12, -1, 0
	s_cmp_eq_u32 s11, s9
	v_cndmask_b32_e64 v5, 0, -1, vcc_lo
	s_cselect_b32 vcc_lo, -1, 0
	s_cmp_lg_u32 s10, 0
	v_sub_co_u32 v6, s10, v4, s8
	s_subb_u32 s7, s7, s9
	s_cmp_lg_u32 s10, 0
	v_cndmask_b32_e32 v5, s12, v5, vcc_lo
	s_subb_u32 s7, s7, 0
	s_cmp_lg_u32 s3, 0
	v_cmp_le_u32_e32 vcc_lo, s8, v3
	s_subb_u32 s5, 0, s5
	s_delay_alu instid0(SALU_CYCLE_1)
	s_cmp_ge_u32 s5, s9
	v_cndmask_b32_e64 v7, 0, -1, vcc_lo
	s_cselect_b32 s8, -1, 0
	s_cmp_eq_u32 s5, s9
	v_cmp_ne_u32_e32 vcc_lo, 0, v5
	v_mov_b32_e32 v5, s7
	s_cselect_b32 s3, -1, 0
	s_delay_alu instid0(SALU_CYCLE_1) | instskip(SKIP_1) | instid1(VALU_DEP_3)
	v_cndmask_b32_e64 v7, s8, v7, s3
	v_cndmask_b32_e32 v4, v4, v6, vcc_lo
	v_cndmask_b32_e32 v5, s11, v5, vcc_lo
	s_delay_alu instid0(VALU_DEP_3) | instskip(NEXT) | instid1(VALU_DEP_3)
	v_cmp_ne_u32_e32 vcc_lo, 0, v7
	v_cndmask_b32_e32 v3, v3, v4, vcc_lo
	s_delay_alu instid0(VALU_DEP_3) | instskip(NEXT) | instid1(VALU_DEP_2)
	v_cndmask_b32_e32 v5, s5, v5, vcc_lo
	v_sub_co_u32 v3, vcc_lo, v3, 0
	s_delay_alu instid0(VALU_DEP_2)
	v_subrev_co_ci_u32_e32 v4, vcc_lo, 0, v5, vcc_lo
	s_and_not1_b32 vcc_lo, exec_lo, s6
	s_cbranch_vccnz .LBB16_6
.LBB16_5:
	v_cvt_f32_u32_e32 v3, s4
	s_sub_i32 s5, 0, s4
	s_delay_alu instid0(VALU_DEP_1) | instskip(SKIP_2) | instid1(VALU_DEP_1)
	v_rcp_iflag_f32_e32 v3, v3
	s_waitcnt_depctr 0xfff
	v_mul_f32_e32 v3, 0x4f7ffffe, v3
	v_cvt_u32_f32_e32 v3, v3
	s_delay_alu instid0(VALU_DEP_1) | instskip(NEXT) | instid1(VALU_DEP_1)
	v_readfirstlane_b32 s3, v3
	s_mul_i32 s5, s5, s3
	s_delay_alu instid0(SALU_CYCLE_1) | instskip(NEXT) | instid1(SALU_CYCLE_1)
	s_mul_hi_u32 s5, s3, s5
	s_add_i32 s3, s3, s5
	s_delay_alu instid0(SALU_CYCLE_1) | instskip(NEXT) | instid1(SALU_CYCLE_1)
	s_mul_hi_u32 s3, s2, s3
	s_mul_i32 s3, s3, s4
	s_delay_alu instid0(SALU_CYCLE_1) | instskip(NEXT) | instid1(SALU_CYCLE_1)
	s_sub_i32 s3, s2, s3
	s_sub_i32 s5, s3, s4
	s_cmp_ge_u32 s3, s4
	s_cselect_b32 s3, s5, s3
	s_mov_b32 s5, 0
	s_sub_i32 s6, s3, s4
	s_cmp_ge_u32 s3, s4
	s_cselect_b32 s4, s6, s3
	s_delay_alu instid0(SALU_CYCLE_1)
	v_dual_mov_b32 v3, s4 :: v_dual_mov_b32 v4, s5
.LBB16_6:
	s_load_b64 s[24:25], s[0:1], 0xa0
	s_waitcnt lgkmcnt(0)
	v_cmp_le_f32_e64 s3, s23, 0
	v_mov_b32_e32 v6, 1.0
	s_delay_alu instid0(VALU_DEP_2)
	s_and_b32 vcc_lo, exec_lo, s3
	s_cbranch_vccnz .LBB16_8
; %bb.7:
	s_clause 0x1
	s_load_b32 s3, s[0:1], 0x28
	s_load_b64 s[4:5], s[0:1], 0x98
	s_add_i32 s7, s14, 1
	s_waitcnt lgkmcnt(0)
	s_sub_i32 s6, s14, s3
	v_mov_b32_e32 v5, s4
	s_lshl_b32 s6, s6, 1
	s_delay_alu instid0(SALU_CYCLE_1)
	s_or_b32 s4, s6, 1
	s_cmp_lt_u32 s14, s3
	s_cselect_b32 vcc_lo, -1, 0
	v_cndmask_b32_e32 v7, s5, v5, vcc_lo
	s_and_b32 s3, vcc_lo, exec_lo
	s_cselect_b32 s3, s7, s4
	s_mov_b32 s4, 0x3e76c4e1
	v_cvt_f32_i32_e32 v5, s3
	v_cmp_neq_f32_e32 vcc_lo, 1.0, v7
	s_delay_alu instid0(VALU_DEP_2) | instskip(NEXT) | instid1(VALU_DEP_1)
	v_cndmask_b32_e32 v8, 1.0, v5, vcc_lo
	v_cmp_eq_f32_e32 vcc_lo, 0, v8
	v_cndmask_b32_e64 v9, |v7|, 1.0, vcc_lo
	s_delay_alu instid0(VALU_DEP_1) | instskip(NEXT) | instid1(VALU_DEP_1)
	v_frexp_mant_f32_e32 v5, v9
	v_cmp_gt_f32_e64 s3, 0x3f2aaaab, v5
	s_delay_alu instid0(VALU_DEP_1) | instskip(NEXT) | instid1(VALU_DEP_1)
	v_cndmask_b32_e64 v6, 1.0, 2.0, s3
	v_mul_f32_e32 v5, v5, v6
	s_delay_alu instid0(VALU_DEP_1) | instskip(SKIP_1) | instid1(VALU_DEP_2)
	v_add_f32_e32 v6, 1.0, v5
	v_add_f32_e32 v11, -1.0, v5
	v_rcp_f32_e32 v10, v6
	s_waitcnt_depctr 0xfff
	v_mul_f32_e32 v12, v11, v10
	s_delay_alu instid0(VALU_DEP_1) | instskip(NEXT) | instid1(VALU_DEP_1)
	v_dual_add_f32 v13, -1.0, v6 :: v_dual_mul_f32 v14, v6, v12
	v_sub_f32_e32 v5, v5, v13
	v_cndmask_b32_e64 v7, v7, 1.0, vcc_lo
	s_delay_alu instid0(VALU_DEP_3) | instskip(NEXT) | instid1(VALU_DEP_2)
	v_fma_f32 v6, v12, v6, -v14
	v_cmp_eq_f32_e64 s5, 0, v7
	s_delay_alu instid0(VALU_DEP_2) | instskip(NEXT) | instid1(VALU_DEP_1)
	v_fmac_f32_e32 v6, v12, v5
	v_add_f32_e32 v5, v14, v6
	s_delay_alu instid0(VALU_DEP_1) | instskip(NEXT) | instid1(VALU_DEP_1)
	v_dual_sub_f32 v14, v5, v14 :: v_dual_sub_f32 v13, v11, v5
	v_dual_sub_f32 v6, v14, v6 :: v_dual_sub_f32 v11, v11, v13
	s_delay_alu instid0(VALU_DEP_1) | instskip(NEXT) | instid1(VALU_DEP_1)
	v_sub_f32_e32 v5, v11, v5
	v_add_f32_e32 v5, v6, v5
	s_delay_alu instid0(VALU_DEP_1) | instskip(NEXT) | instid1(VALU_DEP_1)
	v_add_f32_e32 v5, v13, v5
	v_mul_f32_e32 v5, v10, v5
	s_delay_alu instid0(VALU_DEP_1) | instskip(NEXT) | instid1(VALU_DEP_1)
	v_add_f32_e32 v10, v12, v5
	v_sub_f32_e32 v6, v10, v12
	v_mul_f32_e32 v11, v10, v10
	s_delay_alu instid0(VALU_DEP_2) | instskip(NEXT) | instid1(VALU_DEP_2)
	v_sub_f32_e32 v12, v5, v6
	v_fma_f32 v13, v10, v10, -v11
	s_delay_alu instid0(VALU_DEP_2) | instskip(NEXT) | instid1(VALU_DEP_1)
	v_add_f32_e32 v5, v12, v12
	v_fmac_f32_e32 v13, v10, v5
	v_cvt_f64_f32_e32 v[5:6], v9
	s_delay_alu instid0(VALU_DEP_2) | instskip(NEXT) | instid1(VALU_DEP_1)
	v_add_f32_e32 v14, v11, v13
	v_fmaak_f32 v15, s4, v14, 0x3e91f4c4
	v_sub_f32_e32 v11, v14, v11
	v_mul_f32_e32 v18, v10, v14
	s_delay_alu instid0(VALU_DEP_3) | instskip(NEXT) | instid1(VALU_DEP_3)
	v_fmaak_f32 v15, v14, v15, 0x3ecccdef
	v_sub_f32_e32 v11, v13, v11
	s_delay_alu instid0(VALU_DEP_2) | instskip(NEXT) | instid1(VALU_DEP_1)
	v_mul_f32_e32 v16, v14, v15
	v_fma_f32 v13, v14, v15, -v16
	s_delay_alu instid0(VALU_DEP_1) | instskip(NEXT) | instid1(VALU_DEP_1)
	v_fmac_f32_e32 v13, v11, v15
	v_add_f32_e32 v15, v16, v13
	v_frexp_exp_i32_f64_e32 v5, v[5:6]
	s_delay_alu instid0(VALU_DEP_2) | instskip(NEXT) | instid1(VALU_DEP_1)
	v_sub_f32_e32 v16, v15, v16
	v_sub_f32_e32 v6, v13, v16
	v_fma_f32 v16, v14, v10, -v18
	s_delay_alu instid0(VALU_DEP_2) | instskip(NEXT) | instid1(VALU_DEP_2)
	v_add_f32_e32 v6, 0x31739010, v6
	v_dual_add_f32 v17, 0x3f2aaaaa, v15 :: v_dual_fmac_f32 v16, v14, v12
	v_ldexp_f32 v12, v12, 1
	s_delay_alu instid0(VALU_DEP_2) | instskip(NEXT) | instid1(VALU_DEP_1)
	v_dual_add_f32 v13, 0xbf2aaaaa, v17 :: v_dual_fmac_f32 v16, v11, v10
	v_sub_f32_e32 v13, v15, v13
	s_delay_alu instid0(VALU_DEP_1) | instskip(NEXT) | instid1(VALU_DEP_3)
	v_add_f32_e32 v6, v6, v13
	v_add_f32_e32 v13, v18, v16
	s_delay_alu instid0(VALU_DEP_2) | instskip(NEXT) | instid1(VALU_DEP_1)
	v_add_f32_e32 v11, v17, v6
	v_sub_f32_e32 v14, v17, v11
	s_delay_alu instid0(VALU_DEP_3) | instskip(SKIP_2) | instid1(VALU_DEP_4)
	v_mul_f32_e32 v15, v13, v11
	v_sub_f32_e32 v17, v13, v18
	v_subrev_co_ci_u32_e64 v5, s3, 0, v5, s3
	v_add_f32_e32 v6, v6, v14
	s_delay_alu instid0(VALU_DEP_4) | instskip(NEXT) | instid1(VALU_DEP_4)
	v_fma_f32 v14, v13, v11, -v15
	v_sub_f32_e32 v16, v16, v17
	s_delay_alu instid0(VALU_DEP_4) | instskip(NEXT) | instid1(VALU_DEP_3)
	v_cvt_f32_i32_e32 v5, v5
	v_fmac_f32_e32 v14, v13, v6
	v_ldexp_f32 v6, v10, 1
	s_delay_alu instid0(VALU_DEP_2) | instskip(NEXT) | instid1(VALU_DEP_1)
	v_fmac_f32_e32 v14, v16, v11
	v_add_f32_e32 v10, v15, v14
	s_delay_alu instid0(VALU_DEP_1) | instskip(NEXT) | instid1(VALU_DEP_1)
	v_add_f32_e32 v11, v6, v10
	v_dual_sub_f32 v6, v11, v6 :: v_dual_sub_f32 v13, v10, v15
	s_delay_alu instid0(VALU_DEP_1) | instskip(NEXT) | instid1(VALU_DEP_2)
	v_sub_f32_e32 v6, v10, v6
	v_sub_f32_e32 v13, v14, v13
	s_delay_alu instid0(VALU_DEP_1) | instskip(NEXT) | instid1(VALU_DEP_1)
	v_add_f32_e32 v10, v12, v13
	v_dual_mul_f32 v15, 0x3f317218, v5 :: v_dual_add_f32 v6, v10, v6
	s_delay_alu instid0(VALU_DEP_1) | instskip(NEXT) | instid1(VALU_DEP_2)
	v_fma_f32 v14, 0x3f317218, v5, -v15
	v_add_f32_e32 v12, v11, v6
	s_delay_alu instid0(VALU_DEP_1) | instskip(NEXT) | instid1(VALU_DEP_1)
	v_sub_f32_e32 v11, v12, v11
	v_dual_fmamk_f32 v5, v5, 0xb102e308, v14 :: v_dual_sub_f32 v6, v6, v11
	s_delay_alu instid0(VALU_DEP_1) | instskip(NEXT) | instid1(VALU_DEP_1)
	v_add_f32_e32 v10, v15, v5
	v_add_f32_e32 v13, v10, v12
	s_delay_alu instid0(VALU_DEP_1) | instskip(NEXT) | instid1(VALU_DEP_1)
	v_dual_sub_f32 v15, v10, v15 :: v_dual_sub_f32 v14, v13, v10
	v_sub_f32_e32 v16, v13, v14
	s_delay_alu instid0(VALU_DEP_2) | instskip(NEXT) | instid1(VALU_DEP_2)
	v_sub_f32_e32 v5, v5, v15
	v_dual_sub_f32 v11, v12, v14 :: v_dual_sub_f32 v10, v10, v16
	s_delay_alu instid0(VALU_DEP_2) | instskip(NEXT) | instid1(VALU_DEP_2)
	v_add_f32_e32 v12, v5, v6
	v_add_f32_e32 v10, v11, v10
	s_delay_alu instid0(VALU_DEP_1) | instskip(NEXT) | instid1(VALU_DEP_1)
	v_add_f32_e32 v10, v12, v10
	v_dual_sub_f32 v11, v12, v5 :: v_dual_add_f32 v14, v13, v10
	s_delay_alu instid0(VALU_DEP_1) | instskip(SKIP_1) | instid1(VALU_DEP_3)
	v_sub_f32_e32 v12, v12, v11
	v_sub_f32_e32 v6, v6, v11
	v_sub_f32_e32 v11, v14, v13
	s_delay_alu instid0(VALU_DEP_3) | instskip(NEXT) | instid1(VALU_DEP_1)
	v_sub_f32_e32 v5, v5, v12
	v_add_f32_e32 v5, v6, v5
	s_delay_alu instid0(VALU_DEP_3) | instskip(NEXT) | instid1(VALU_DEP_1)
	v_sub_f32_e32 v6, v10, v11
	v_add_f32_e32 v5, v5, v6
	s_delay_alu instid0(VALU_DEP_1) | instskip(NEXT) | instid1(VALU_DEP_1)
	v_add_f32_e32 v6, v14, v5
	v_mul_f32_e32 v11, v8, v6
	v_sub_f32_e32 v10, v6, v14
	s_delay_alu instid0(VALU_DEP_2) | instskip(NEXT) | instid1(VALU_DEP_2)
	v_fma_f32 v6, v8, v6, -v11
	v_sub_f32_e32 v5, v5, v10
	v_cmp_class_f32_e64 s3, v11, 0x204
	s_delay_alu instid0(VALU_DEP_2) | instskip(NEXT) | instid1(VALU_DEP_1)
	v_fmac_f32_e32 v6, v8, v5
	v_add_f32_e32 v5, v11, v6
	s_delay_alu instid0(VALU_DEP_1) | instskip(NEXT) | instid1(VALU_DEP_1)
	v_cndmask_b32_e64 v10, v5, v11, s3
	v_cmp_eq_f32_e64 s3, 0x42b17218, v10
	s_delay_alu instid0(VALU_DEP_1) | instskip(SKIP_1) | instid1(VALU_DEP_2)
	v_cndmask_b32_e64 v12, 0, 0x37000000, s3
	v_cmp_neq_f32_e64 s3, 0x7f800000, |v10|
	v_sub_f32_e32 v13, v10, v12
	v_trunc_f32_e32 v10, v8
	s_delay_alu instid0(VALU_DEP_2) | instskip(NEXT) | instid1(VALU_DEP_1)
	v_mul_f32_e32 v14, 0x3fb8aa3b, v13
	v_fma_f32 v15, 0x3fb8aa3b, v13, -v14
	v_rndne_f32_e32 v16, v14
	s_delay_alu instid0(VALU_DEP_1) | instskip(NEXT) | instid1(VALU_DEP_1)
	v_dual_fmamk_f32 v15, v13, 0x32a5705f, v15 :: v_dual_sub_f32 v14, v14, v16
	v_add_f32_e32 v14, v14, v15
	v_sub_f32_e32 v5, v5, v11
	v_cvt_i32_f32_e32 v11, v16
	s_delay_alu instid0(VALU_DEP_3) | instskip(NEXT) | instid1(VALU_DEP_2)
	v_exp_f32_e32 v14, v14
	v_sub_f32_e32 v5, v6, v5
	s_delay_alu instid0(VALU_DEP_1)
	v_cndmask_b32_e64 v5, 0, v5, s3
	v_cmp_ngt_f32_e64 s3, 0xc2ce8ed0, v13
	s_waitcnt_depctr 0xfff
	v_ldexp_f32 v6, v14, v11
	v_mul_f32_e32 v11, 0.5, v8
	v_add_f32_e32 v5, v12, v5
	s_delay_alu instid0(VALU_DEP_3) | instskip(NEXT) | instid1(VALU_DEP_3)
	v_cndmask_b32_e64 v6, 0, v6, s3
	v_trunc_f32_e32 v14, v11
	v_cmp_nlt_f32_e64 s3, 0x42b17218, v13
	s_delay_alu instid0(VALU_DEP_2) | instskip(NEXT) | instid1(VALU_DEP_2)
	v_cmp_neq_f32_e64 s4, v14, v11
	v_cndmask_b32_e64 v6, 0x7f800000, v6, s3
	v_cmp_eq_f32_e64 s3, v10, v8
	s_delay_alu instid0(VALU_DEP_2) | instskip(NEXT) | instid1(VALU_DEP_2)
	v_fma_f32 v5, v6, v5, v6
	s_and_b32 vcc_lo, s3, s4
	v_cmp_class_f32_e64 s4, v6, 0x204
	v_cndmask_b32_e32 v10, 1.0, v7, vcc_lo
	s_delay_alu instid0(VALU_DEP_2) | instskip(SKIP_1) | instid1(VALU_DEP_2)
	v_cndmask_b32_e64 v5, v5, v6, s4
	v_cmp_gt_f32_e64 s4, 0, v8
	v_bfi_b32 v5, 0x7fffffff, v5, v10
	s_delay_alu instid0(VALU_DEP_2)
	s_xor_b32 s4, s4, s5
	v_cndmask_b32_e32 v10, 0, v7, vcc_lo
	v_cndmask_b32_e64 v6, 0x7f800000, 0, s4
	v_cmp_eq_f32_e32 vcc_lo, 0x7f800000, v9
	v_cndmask_b32_e64 v8, 0x7fc00000, v5, s3
	v_cmp_gt_f32_e64 s3, 0, v7
	s_delay_alu instid0(VALU_DEP_4) | instskip(SKIP_1) | instid1(VALU_DEP_2)
	v_bfi_b32 v6, 0x7fffffff, v6, v10
	s_or_b32 vcc_lo, vcc_lo, s5
	v_cndmask_b32_e64 v5, v5, v8, s3
	s_delay_alu instid0(VALU_DEP_1) | instskip(SKIP_1) | instid1(VALU_DEP_2)
	v_cndmask_b32_e32 v5, v5, v6, vcc_lo
	v_cmp_o_f32_e32 vcc_lo, v7, v7
	v_cndmask_b32_e32 v6, 0x7fc00000, v5, vcc_lo
.LBB16_8:
	s_load_b256 s[4:11], s[0:1], 0x0
	s_waitcnt lgkmcnt(0)
	s_cmp_lg_u64 s[8:9], 0
	s_cselect_b32 s1, -1, 0
	s_cmp_eq_u64 s[8:9], 0
	s_cbranch_scc1 .LBB16_12
; %bb.9:
	s_lshl_b64 s[26:27], s[14:15], 2
	s_delay_alu instid0(SALU_CYCLE_1)
	s_add_u32 s26, s8, s26
	s_addc_u32 s27, s9, s27
	s_load_b32 s0, s[26:27], 0x0
	s_branch .LBB16_13
.LBB16_10:
                                        ; implicit-def: $vgpr1_vgpr2
	s_branch .LBB16_2
.LBB16_11:
                                        ; implicit-def: $vgpr3_vgpr4
	s_branch .LBB16_5
.LBB16_12:
	s_mov_b32 s0, 0xff800000
.LBB16_13:
	s_mul_i32 s2, s25, s2
	v_dual_mov_b32 v8, 0 :: v_dual_lshlrev_b32 v5, 2, v0
	s_add_i32 s2, s2, s14
	s_delay_alu instid0(SALU_CYCLE_1) | instskip(NEXT) | instid1(SALU_CYCLE_1)
	s_mul_i32 s2, s2, s24
	s_add_i32 s2, s2, s13
	s_delay_alu instid0(SALU_CYCLE_1) | instskip(NEXT) | instid1(SALU_CYCLE_1)
	s_ashr_i32 s3, s2, 31
	s_lshl_b64 s[24:25], s[2:3], 12
	s_delay_alu instid0(SALU_CYCLE_1)
	s_add_u32 s4, s4, s24
	s_addc_u32 s5, s5, s25
	s_cmp_eq_u64 s[6:7], 0
	global_load_b32 v7, v5, s[4:5]
	s_cselect_b32 s4, -1, 0
	s_cmp_lg_u64 s[6:7], 0
	s_cbranch_scc0 .LBB16_15
; %bb.14:
	v_mul_lo_u32 v8, v1, s19
	v_mul_hi_u32 v9, v1, s18
	v_mul_lo_u32 v10, v3, s21
	v_mul_hi_u32 v11, v3, s20
	v_mul_lo_u32 v2, v2, s18
	v_mul_lo_u32 v1, v1, s18
	;; [unrolled: 1-line block ×4, first 2 shown]
	s_mul_i32 s5, s17, s13
	v_add_nc_u32_e32 v8, v9, v8
	s_mul_hi_u32 s12, s16, s13
	v_add_nc_u32_e32 v9, v11, v10
	s_mul_i32 s13, s16, s13
	s_add_i32 s12, s12, s5
	v_add_nc_u32_e32 v2, v8, v2
	v_add_co_u32 v1, vcc_lo, v1, s13
	v_add_nc_u32_e32 v4, v9, v4
	s_delay_alu instid0(VALU_DEP_3) | instskip(NEXT) | instid1(VALU_DEP_3)
	v_add_co_ci_u32_e32 v2, vcc_lo, s12, v2, vcc_lo
	v_add_co_u32 v1, vcc_lo, v1, v3
	s_delay_alu instid0(VALU_DEP_2) | instskip(NEXT) | instid1(VALU_DEP_1)
	v_add_co_ci_u32_e32 v2, vcc_lo, v2, v4, vcc_lo
	v_lshrrev_b64 v[1:2], 2, v[1:2]
	s_delay_alu instid0(VALU_DEP_1) | instskip(NEXT) | instid1(VALU_DEP_2)
	v_cndmask_b32_e64 v2, v2, 0, s4
	v_cndmask_b32_e64 v1, v1, 0, s4
	s_delay_alu instid0(VALU_DEP_1) | instskip(NEXT) | instid1(VALU_DEP_1)
	v_lshlrev_b64 v[1:2], 2, v[1:2]
	v_add_co_u32 v1, vcc_lo, s6, v1
	s_delay_alu instid0(VALU_DEP_2) | instskip(NEXT) | instid1(VALU_DEP_2)
	v_add_co_ci_u32_e32 v2, vcc_lo, s7, v2, vcc_lo
	v_readfirstlane_b32 s4, v1
	s_delay_alu instid0(VALU_DEP_2)
	v_readfirstlane_b32 s5, v2
	global_load_b32 v1, v5, s[4:5]
	s_waitcnt vmcnt(0)
	v_mul_f32_e32 v8, v6, v1
.LBB16_15:
	v_mbcnt_lo_u32_b32 v1, -1, 0
	s_waitcnt lgkmcnt(0)
	v_max_f32_e64 v3, s0, s0
	s_delay_alu instid0(VALU_DEP_2) | instskip(SKIP_1) | instid1(VALU_DEP_2)
	v_xor_b32_e32 v2, 16, v1
	v_xor_b32_e32 v6, 8, v1
	v_cmp_gt_i32_e32 vcc_lo, 32, v2
	v_cndmask_b32_e32 v2, v1, v2, vcc_lo
	s_delay_alu instid0(VALU_DEP_3) | instskip(NEXT) | instid1(VALU_DEP_2)
	v_cmp_gt_i32_e32 vcc_lo, 32, v6
	v_lshlrev_b32_e32 v2, 2, v2
	v_cndmask_b32_e32 v6, v1, v6, vcc_lo
	s_waitcnt vmcnt(0)
	v_fmac_f32_e32 v8, s22, v7
	s_delay_alu instid0(VALU_DEP_1) | instskip(SKIP_3) | instid1(VALU_DEP_1)
	v_max_f32_e32 v4, v3, v8
	ds_bpermute_b32 v3, v2, v4
	s_waitcnt lgkmcnt(0)
	v_max_f32_e32 v7, v3, v3
	v_dual_max_f32 v6, v4, v7 :: v_dual_lshlrev_b32 v3, 2, v6
	v_xor_b32_e32 v7, 4, v1
	ds_bpermute_b32 v4, v3, v6
	v_cmp_gt_i32_e32 vcc_lo, 32, v7
	v_cndmask_b32_e32 v7, v1, v7, vcc_lo
	s_waitcnt lgkmcnt(0)
	s_delay_alu instid0(VALU_DEP_1) | instskip(NEXT) | instid1(VALU_DEP_1)
	v_dual_max_f32 v9, v4, v4 :: v_dual_lshlrev_b32 v4, 2, v7
	v_max_f32_e32 v7, v6, v9
	v_xor_b32_e32 v9, 2, v1
	ds_bpermute_b32 v6, v4, v7
	v_cmp_gt_i32_e32 vcc_lo, 32, v9
	s_waitcnt lgkmcnt(0)
	v_dual_cndmask_b32 v9, v1, v9 :: v_dual_max_f32 v10, v6, v6
	s_delay_alu instid0(VALU_DEP_1)
	v_dual_max_f32 v7, v7, v10 :: v_dual_lshlrev_b32 v6, 2, v9
	v_xor_b32_e32 v10, 1, v1
	ds_bpermute_b32 v9, v6, v7
	v_cmp_gt_i32_e32 vcc_lo, 32, v10
	s_waitcnt lgkmcnt(0)
	v_max_f32_e32 v9, v9, v9
	s_delay_alu instid0(VALU_DEP_1) | instskip(NEXT) | instid1(VALU_DEP_1)
	v_dual_cndmask_b32 v1, v1, v10 :: v_dual_max_f32 v10, v7, v9
	v_lshlrev_b32_e32 v7, 2, v1
	v_and_b32_e32 v9, 31, v0
	v_lshl_add_u32 v1, v0, 2, 0
	v_lshrrev_b32_e32 v0, 3, v0
	ds_bpermute_b32 v11, v7, v10
	v_cmp_eq_u32_e32 vcc_lo, 0, v9
	ds_store_b32 v1, v8 offset:128
	s_and_saveexec_b32 s0, vcc_lo
	s_delay_alu instid0(SALU_CYCLE_1)
	s_xor_b32 s0, exec_lo, s0
	s_cbranch_execz .LBB16_17
; %bb.16:
	s_waitcnt lgkmcnt(1)
	v_max_f32_e32 v8, v11, v11
	v_max_f32_e32 v10, v10, v10
	s_delay_alu instid0(VALU_DEP_1)
	v_max_f32_e32 v8, v10, v8
	v_add_nc_u32_e32 v10, 0, v0
	ds_store_b32 v10, v8
.LBB16_17:
	s_or_b32 exec_lo, exec_lo, s0
	v_lshl_add_u32 v8, v9, 2, 0
	s_waitcnt lgkmcnt(0)
	s_barrier
	buffer_gl0_inv
	ds_load_b32 v9, v8
	ds_load_b32 v10, v1 offset:128
	s_waitcnt lgkmcnt(1)
	ds_bpermute_b32 v11, v2, v9
	v_max_f32_e32 v9, v9, v9
	s_waitcnt lgkmcnt(0)
	v_max_f32_e32 v11, v11, v11
	s_delay_alu instid0(VALU_DEP_1) | instskip(SKIP_3) | instid1(VALU_DEP_1)
	v_max_f32_e32 v9, v9, v11
	ds_bpermute_b32 v11, v3, v9
	s_waitcnt lgkmcnt(0)
	v_max_f32_e32 v11, v11, v11
	v_max_f32_e32 v9, v9, v11
	ds_bpermute_b32 v11, v4, v9
	s_waitcnt lgkmcnt(0)
	v_max_f32_e32 v11, v11, v11
	s_delay_alu instid0(VALU_DEP_1) | instskip(SKIP_3) | instid1(VALU_DEP_1)
	v_max_f32_e32 v9, v9, v11
	ds_bpermute_b32 v11, v6, v9
	s_waitcnt lgkmcnt(0)
	v_max_f32_e32 v11, v11, v11
	v_max_f32_e32 v9, v9, v11
	ds_bpermute_b32 v11, v7, v9
	s_waitcnt lgkmcnt(0)
	v_max_f32_e32 v11, v11, v11
	s_delay_alu instid0(VALU_DEP_1) | instskip(NEXT) | instid1(VALU_DEP_1)
	v_max_f32_e32 v9, v9, v11
	v_sub_f32_e32 v10, v10, v9
	s_delay_alu instid0(VALU_DEP_1) | instskip(SKIP_1) | instid1(VALU_DEP_2)
	v_mul_f32_e32 v11, 0x3fb8aa3b, v10
	v_cmp_ngt_f32_e64 s0, 0xc2ce8ed0, v10
	v_fma_f32 v12, 0x3fb8aa3b, v10, -v11
	v_rndne_f32_e32 v13, v11
	s_delay_alu instid0(VALU_DEP_1) | instskip(NEXT) | instid1(VALU_DEP_1)
	v_dual_fmamk_f32 v12, v10, 0x32a5705f, v12 :: v_dual_sub_f32 v11, v11, v13
	v_add_f32_e32 v11, v11, v12
	v_cvt_i32_f32_e32 v12, v13
	s_delay_alu instid0(VALU_DEP_2) | instskip(SKIP_2) | instid1(VALU_DEP_1)
	v_exp_f32_e32 v11, v11
	s_waitcnt_depctr 0xfff
	v_ldexp_f32 v11, v11, v12
	v_cndmask_b32_e64 v11, 0, v11, s0
	v_cmp_nlt_f32_e64 s0, 0x42b17218, v10
	s_delay_alu instid0(VALU_DEP_1)
	v_cndmask_b32_e64 v12, 0x7f800000, v11, s0
	ds_bpermute_b32 v10, v2, v12
	ds_store_b32 v1, v12 offset:128
	s_waitcnt lgkmcnt(1)
	v_add_f32_e32 v10, v12, v10
	ds_bpermute_b32 v11, v3, v10
	s_waitcnt lgkmcnt(0)
	v_add_f32_e32 v10, v10, v11
	ds_bpermute_b32 v11, v4, v10
	;; [unrolled: 3-line block ×4, first 2 shown]
	s_and_saveexec_b32 s0, vcc_lo
	s_cbranch_execz .LBB16_19
; %bb.18:
	s_waitcnt lgkmcnt(0)
	v_add_f32_e32 v10, v10, v11
	v_add_nc_u32_e32 v0, 0, v0
	ds_store_b32 v0, v10
.LBB16_19:
	s_or_b32 exec_lo, exec_lo, s0
	s_waitcnt lgkmcnt(0)
	s_barrier
	buffer_gl0_inv
	ds_load_b32 v0, v8
	s_and_not1_b32 vcc_lo, exec_lo, s1
	s_lshl_b64 s[0:1], s[2:3], 10
	s_waitcnt lgkmcnt(0)
	ds_bpermute_b32 v2, v2, v0
	s_waitcnt lgkmcnt(0)
	v_add_f32_e32 v0, v0, v2
	ds_bpermute_b32 v2, v3, v0
	s_waitcnt lgkmcnt(0)
	v_add_f32_e32 v0, v0, v2
	;; [unrolled: 3-line block ×5, first 2 shown]
	s_cbranch_vccnz .LBB16_21
; %bb.20:
	s_lshl_b64 s[2:3], s[14:15], 2
	s_delay_alu instid0(SALU_CYCLE_1) | instskip(SKIP_4) | instid1(VALU_DEP_1)
	s_add_u32 s2, s8, s2
	s_addc_u32 s3, s9, s3
	s_load_b32 s2, s[2:3], 0x0
	s_waitcnt lgkmcnt(0)
	v_sub_f32_e32 v2, s2, v9
	v_mul_f32_e32 v3, 0x3fb8aa3b, v2
	s_delay_alu instid0(VALU_DEP_1) | instskip(SKIP_1) | instid1(VALU_DEP_1)
	v_fma_f32 v4, 0x3fb8aa3b, v2, -v3
	v_rndne_f32_e32 v6, v3
	v_sub_f32_e32 v3, v3, v6
	v_cmp_ngt_f32_e32 vcc_lo, 0xc2ce8ed0, v2
	s_delay_alu instid0(VALU_DEP_4) | instskip(NEXT) | instid1(VALU_DEP_1)
	v_fmamk_f32 v4, v2, 0x32a5705f, v4
	v_add_f32_e32 v3, v3, v4
	v_cvt_i32_f32_e32 v4, v6
	s_delay_alu instid0(VALU_DEP_2) | instskip(SKIP_2) | instid1(VALU_DEP_1)
	v_exp_f32_e32 v3, v3
	s_waitcnt_depctr 0xfff
	v_ldexp_f32 v3, v3, v4
	v_cndmask_b32_e32 v3, 0, v3, vcc_lo
	v_cmp_nlt_f32_e32 vcc_lo, 0x42b17218, v2
	s_delay_alu instid0(VALU_DEP_2) | instskip(NEXT) | instid1(VALU_DEP_1)
	v_cndmask_b32_e32 v2, 0x7f800000, v3, vcc_lo
	v_add_f32_e32 v0, v0, v2
.LBB16_21:
	s_delay_alu instid0(VALU_DEP_1) | instskip(SKIP_4) | instid1(SALU_CYCLE_1)
	v_div_scale_f32 v2, null, v0, v0, 1.0
	v_div_scale_f32 v6, vcc_lo, 1.0, v0, 1.0
	ds_load_b32 v1, v1 offset:128
	v_rcp_f32_e32 v3, v2
	s_lshl_b64 s[0:1], s[0:1], 2
	s_add_u32 s0, s10, s0
	s_addc_u32 s1, s11, s1
	s_waitcnt_depctr 0xfff
	v_fma_f32 v4, -v2, v3, 1.0
	s_delay_alu instid0(VALU_DEP_1) | instskip(NEXT) | instid1(VALU_DEP_1)
	v_fmac_f32_e32 v3, v4, v3
	v_mul_f32_e32 v4, v6, v3
	s_delay_alu instid0(VALU_DEP_1) | instskip(NEXT) | instid1(VALU_DEP_1)
	v_fma_f32 v7, -v2, v4, v6
	v_fmac_f32_e32 v4, v7, v3
	s_delay_alu instid0(VALU_DEP_1) | instskip(NEXT) | instid1(VALU_DEP_1)
	v_fma_f32 v2, -v2, v4, v6
	v_div_fmas_f32 v2, v2, v3, v4
	s_delay_alu instid0(VALU_DEP_1) | instskip(SKIP_1) | instid1(VALU_DEP_1)
	v_div_fixup_f32 v0, v2, v0, 1.0
	s_waitcnt lgkmcnt(0)
	v_mul_f32_e32 v0, v1, v0
	global_store_b32 v5, v0, s[0:1]
	s_nop 0
	s_sendmsg sendmsg(MSG_DEALLOC_VGPRS)
	s_endpgm
	.section	.rodata,"a",@progbits
	.p2align	6, 0x0
	.amdhsa_kernel _ZL12soft_max_f32ILb1ELi1024ELi1024EfEvPKfPKT2_S1_Pf15soft_max_params
		.amdhsa_group_segment_fixed_size 0
		.amdhsa_private_segment_fixed_size 0
		.amdhsa_kernarg_size 416
		.amdhsa_user_sgpr_count 13
		.amdhsa_user_sgpr_dispatch_ptr 0
		.amdhsa_user_sgpr_queue_ptr 0
		.amdhsa_user_sgpr_kernarg_segment_ptr 1
		.amdhsa_user_sgpr_dispatch_id 0
		.amdhsa_user_sgpr_private_segment_size 0
		.amdhsa_wavefront_size32 1
		.amdhsa_uses_dynamic_stack 0
		.amdhsa_enable_private_segment 0
		.amdhsa_system_sgpr_workgroup_id_x 1
		.amdhsa_system_sgpr_workgroup_id_y 1
		.amdhsa_system_sgpr_workgroup_id_z 1
		.amdhsa_system_sgpr_workgroup_info 0
		.amdhsa_system_vgpr_workitem_id 0
		.amdhsa_next_free_vgpr 19
		.amdhsa_next_free_sgpr 28
		.amdhsa_reserve_vcc 1
		.amdhsa_float_round_mode_32 0
		.amdhsa_float_round_mode_16_64 0
		.amdhsa_float_denorm_mode_32 3
		.amdhsa_float_denorm_mode_16_64 3
		.amdhsa_dx10_clamp 1
		.amdhsa_ieee_mode 1
		.amdhsa_fp16_overflow 0
		.amdhsa_workgroup_processor_mode 1
		.amdhsa_memory_ordered 1
		.amdhsa_forward_progress 0
		.amdhsa_shared_vgpr_count 0
		.amdhsa_exception_fp_ieee_invalid_op 0
		.amdhsa_exception_fp_denorm_src 0
		.amdhsa_exception_fp_ieee_div_zero 0
		.amdhsa_exception_fp_ieee_overflow 0
		.amdhsa_exception_fp_ieee_underflow 0
		.amdhsa_exception_fp_ieee_inexact 0
		.amdhsa_exception_int_div_zero 0
	.end_amdhsa_kernel
	.section	.text._ZL12soft_max_f32ILb1ELi1024ELi1024EfEvPKfPKT2_S1_Pf15soft_max_params,"axG",@progbits,_ZL12soft_max_f32ILb1ELi1024ELi1024EfEvPKfPKT2_S1_Pf15soft_max_params,comdat
.Lfunc_end16:
	.size	_ZL12soft_max_f32ILb1ELi1024ELi1024EfEvPKfPKT2_S1_Pf15soft_max_params, .Lfunc_end16-_ZL12soft_max_f32ILb1ELi1024ELi1024EfEvPKfPKT2_S1_Pf15soft_max_params
                                        ; -- End function
	.section	.AMDGPU.csdata,"",@progbits
; Kernel info:
; codeLenInByte = 4252
; NumSgprs: 30
; NumVgprs: 19
; ScratchSize: 0
; MemoryBound: 0
; FloatMode: 240
; IeeeMode: 1
; LDSByteSize: 0 bytes/workgroup (compile time only)
; SGPRBlocks: 3
; VGPRBlocks: 2
; NumSGPRsForWavesPerEU: 30
; NumVGPRsForWavesPerEU: 19
; Occupancy: 16
; WaveLimiterHint : 1
; COMPUTE_PGM_RSRC2:SCRATCH_EN: 0
; COMPUTE_PGM_RSRC2:USER_SGPR: 13
; COMPUTE_PGM_RSRC2:TRAP_HANDLER: 0
; COMPUTE_PGM_RSRC2:TGID_X_EN: 1
; COMPUTE_PGM_RSRC2:TGID_Y_EN: 1
; COMPUTE_PGM_RSRC2:TGID_Z_EN: 1
; COMPUTE_PGM_RSRC2:TIDIG_COMP_CNT: 0
	.section	.text._ZL12soft_max_f32ILb1ELi512ELi512EfEvPKfPKT2_S1_Pf15soft_max_params,"axG",@progbits,_ZL12soft_max_f32ILb1ELi512ELi512EfEvPKfPKT2_S1_Pf15soft_max_params,comdat
	.globl	_ZL12soft_max_f32ILb1ELi512ELi512EfEvPKfPKT2_S1_Pf15soft_max_params ; -- Begin function _ZL12soft_max_f32ILb1ELi512ELi512EfEvPKfPKT2_S1_Pf15soft_max_params
	.p2align	8
	.type	_ZL12soft_max_f32ILb1ELi512ELi512EfEvPKfPKT2_S1_Pf15soft_max_params,@function
_ZL12soft_max_f32ILb1ELi512ELi512EfEvPKfPKT2_S1_Pf15soft_max_params: ; @_ZL12soft_max_f32ILb1ELi512ELi512EfEvPKfPKT2_S1_Pf15soft_max_params
; %bb.0:
	s_clause 0x1
	s_load_b256 s[16:23], s[0:1], 0x68
	s_load_b64 s[4:5], s[0:1], 0x88
	s_mov_b32 s2, s15
	s_mov_b32 s15, 0
	s_delay_alu instid0(SALU_CYCLE_1) | instskip(SKIP_2) | instid1(SALU_CYCLE_1)
	s_mov_b32 s6, s15
	s_waitcnt lgkmcnt(0)
	s_mov_b32 s7, s23
	s_cmp_lg_u64 s[6:7], 0
	s_cbranch_scc0 .LBB17_10
; %bb.1:
	s_ashr_i32 s6, s23, 31
	s_delay_alu instid0(SALU_CYCLE_1) | instskip(SKIP_2) | instid1(SALU_CYCLE_1)
	s_add_u32 s8, s22, s6
	s_mov_b32 s7, s6
	s_addc_u32 s9, s23, s6
	s_xor_b64 s[6:7], s[8:9], s[6:7]
	s_delay_alu instid0(SALU_CYCLE_1) | instskip(SKIP_3) | instid1(VALU_DEP_1)
	v_cvt_f32_u32_e32 v1, s6
	v_cvt_f32_u32_e32 v2, s7
	s_sub_u32 s9, 0, s6
	s_subb_u32 s10, 0, s7
	v_fmamk_f32 v1, v2, 0x4f800000, v1
	s_delay_alu instid0(VALU_DEP_1) | instskip(SKIP_2) | instid1(VALU_DEP_1)
	v_rcp_f32_e32 v1, v1
	s_waitcnt_depctr 0xfff
	v_mul_f32_e32 v1, 0x5f7ffffc, v1
	v_mul_f32_e32 v2, 0x2f800000, v1
	s_delay_alu instid0(VALU_DEP_1) | instskip(NEXT) | instid1(VALU_DEP_1)
	v_trunc_f32_e32 v2, v2
	v_fmamk_f32 v1, v2, 0xcf800000, v1
	v_cvt_u32_f32_e32 v2, v2
	s_delay_alu instid0(VALU_DEP_2) | instskip(NEXT) | instid1(VALU_DEP_2)
	v_cvt_u32_f32_e32 v1, v1
	v_readfirstlane_b32 s3, v2
	s_delay_alu instid0(VALU_DEP_2) | instskip(NEXT) | instid1(VALU_DEP_2)
	v_readfirstlane_b32 s8, v1
	s_mul_i32 s11, s9, s3
	s_delay_alu instid0(VALU_DEP_1)
	s_mul_hi_u32 s23, s9, s8
	s_mul_i32 s12, s10, s8
	s_add_i32 s11, s23, s11
	s_mul_i32 s24, s9, s8
	s_add_i32 s11, s11, s12
	s_mul_hi_u32 s23, s8, s24
	s_mul_hi_u32 s25, s3, s24
	s_mul_i32 s12, s3, s24
	s_mul_hi_u32 s24, s8, s11
	s_mul_i32 s8, s8, s11
	s_mul_hi_u32 s26, s3, s11
	s_add_u32 s8, s23, s8
	s_addc_u32 s23, 0, s24
	s_add_u32 s8, s8, s12
	s_mul_i32 s11, s3, s11
	s_addc_u32 s8, s23, s25
	s_addc_u32 s12, s26, 0
	s_add_u32 s8, s8, s11
	s_addc_u32 s11, 0, s12
	v_add_co_u32 v1, s8, v1, s8
	s_delay_alu instid0(VALU_DEP_1) | instskip(SKIP_1) | instid1(VALU_DEP_1)
	s_cmp_lg_u32 s8, 0
	s_addc_u32 s3, s3, s11
	v_readfirstlane_b32 s8, v1
	s_mul_i32 s11, s9, s3
	s_delay_alu instid0(VALU_DEP_1)
	s_mul_hi_u32 s12, s9, s8
	s_mul_i32 s10, s10, s8
	s_add_i32 s11, s12, s11
	s_mul_i32 s9, s9, s8
	s_add_i32 s11, s11, s10
	s_mul_hi_u32 s12, s3, s9
	s_mul_i32 s23, s3, s9
	s_mul_hi_u32 s9, s8, s9
	s_mul_hi_u32 s24, s8, s11
	s_mul_i32 s8, s8, s11
	s_mul_hi_u32 s10, s3, s11
	s_add_u32 s8, s9, s8
	s_addc_u32 s9, 0, s24
	s_add_u32 s8, s8, s23
	s_mul_i32 s11, s3, s11
	s_addc_u32 s8, s9, s12
	s_addc_u32 s9, s10, 0
	s_add_u32 s8, s8, s11
	s_addc_u32 s9, 0, s9
	v_add_co_u32 v1, s8, v1, s8
	s_delay_alu instid0(VALU_DEP_1) | instskip(SKIP_1) | instid1(VALU_DEP_1)
	s_cmp_lg_u32 s8, 0
	s_addc_u32 s3, s3, s9
	v_readfirstlane_b32 s8, v1
	s_mul_i32 s9, s14, s3
	s_mul_hi_u32 s3, s14, s3
	s_delay_alu instid0(VALU_DEP_1) | instskip(NEXT) | instid1(SALU_CYCLE_1)
	s_mul_hi_u32 s8, s14, s8
	s_add_u32 s8, s8, s9
	s_addc_u32 s3, 0, s3
	s_add_u32 s8, s8, 0
	s_addc_u32 s3, s3, 0
	s_addc_u32 s8, 0, 0
	s_add_u32 s3, s3, 0
	s_addc_u32 s8, 0, s8
	s_mul_hi_u32 s9, s6, s3
	s_mul_i32 s8, s6, s8
	s_mul_i32 s10, s7, s3
	;; [unrolled: 1-line block ×3, first 2 shown]
	s_add_i32 s8, s9, s8
	v_sub_co_u32 v1, s3, s14, s3
	s_add_i32 s8, s8, s10
	s_delay_alu instid0(SALU_CYCLE_1) | instskip(SKIP_1) | instid1(VALU_DEP_1)
	s_sub_i32 s9, 0, s8
	s_cmp_lg_u32 s3, 0
	v_sub_co_u32 v2, s10, v1, s6
	s_subb_u32 s9, s9, s7
	s_cmp_lg_u32 s10, 0
	s_subb_u32 s11, s9, 0
	s_delay_alu instid0(VALU_DEP_1)
	v_cmp_le_u32_e32 vcc_lo, s6, v2
	s_cmp_ge_u32 s11, s7
	s_cselect_b32 s12, -1, 0
	s_cmp_eq_u32 s11, s7
	v_cndmask_b32_e64 v3, 0, -1, vcc_lo
	s_cselect_b32 vcc_lo, -1, 0
	s_cmp_lg_u32 s10, 0
	v_sub_co_u32 v4, s10, v2, s6
	s_subb_u32 s9, s9, s7
	s_cmp_lg_u32 s10, 0
	v_cndmask_b32_e32 v3, s12, v3, vcc_lo
	s_subb_u32 s9, s9, 0
	s_cmp_lg_u32 s3, 0
	v_cmp_le_u32_e32 vcc_lo, s6, v1
	s_subb_u32 s8, 0, s8
	s_delay_alu instid0(SALU_CYCLE_1)
	s_cmp_ge_u32 s8, s7
	v_cndmask_b32_e64 v5, 0, -1, vcc_lo
	s_cselect_b32 s6, -1, 0
	s_cmp_eq_u32 s8, s7
	v_cmp_ne_u32_e32 vcc_lo, 0, v3
	v_mov_b32_e32 v3, s9
	s_cselect_b32 s3, -1, 0
	s_delay_alu instid0(SALU_CYCLE_1) | instskip(SKIP_1) | instid1(VALU_DEP_3)
	v_cndmask_b32_e64 v5, s6, v5, s3
	v_cndmask_b32_e32 v2, v2, v4, vcc_lo
	v_cndmask_b32_e32 v3, s11, v3, vcc_lo
	s_mov_b32 s3, s15
	s_delay_alu instid0(VALU_DEP_3) | instskip(NEXT) | instid1(VALU_DEP_3)
	v_cmp_ne_u32_e32 vcc_lo, 0, v5
	v_cndmask_b32_e32 v1, v1, v2, vcc_lo
	s_delay_alu instid0(VALU_DEP_3) | instskip(NEXT) | instid1(VALU_DEP_2)
	v_cndmask_b32_e32 v3, s8, v3, vcc_lo
	v_sub_co_u32 v1, vcc_lo, v1, 0
	s_delay_alu instid0(VALU_DEP_2)
	v_subrev_co_ci_u32_e32 v2, vcc_lo, 0, v3, vcc_lo
	s_and_not1_b32 vcc_lo, exec_lo, s3
	s_cbranch_vccnz .LBB17_3
.LBB17_2:
	v_cvt_f32_u32_e32 v1, s22
	s_mov_b32 s7, 0
	s_sub_i32 s6, 0, s22
	s_delay_alu instid0(VALU_DEP_1) | instskip(SKIP_2) | instid1(VALU_DEP_1)
	v_rcp_iflag_f32_e32 v1, v1
	s_waitcnt_depctr 0xfff
	v_mul_f32_e32 v1, 0x4f7ffffe, v1
	v_cvt_u32_f32_e32 v1, v1
	s_delay_alu instid0(VALU_DEP_1) | instskip(NEXT) | instid1(VALU_DEP_1)
	v_readfirstlane_b32 s3, v1
	s_mul_i32 s6, s6, s3
	s_delay_alu instid0(SALU_CYCLE_1) | instskip(NEXT) | instid1(SALU_CYCLE_1)
	s_mul_hi_u32 s6, s3, s6
	s_add_i32 s3, s3, s6
	s_delay_alu instid0(SALU_CYCLE_1) | instskip(NEXT) | instid1(SALU_CYCLE_1)
	s_mul_hi_u32 s3, s14, s3
	s_mul_i32 s3, s3, s22
	s_delay_alu instid0(SALU_CYCLE_1) | instskip(NEXT) | instid1(SALU_CYCLE_1)
	s_sub_i32 s3, s14, s3
	s_sub_i32 s6, s3, s22
	s_cmp_ge_u32 s3, s22
	s_cselect_b32 s3, s6, s3
	s_delay_alu instid0(SALU_CYCLE_1) | instskip(SKIP_2) | instid1(SALU_CYCLE_1)
	s_sub_i32 s6, s3, s22
	s_cmp_ge_u32 s3, s22
	s_cselect_b32 s6, s6, s3
	v_dual_mov_b32 v1, s6 :: v_dual_mov_b32 v2, s7
.LBB17_3:
	s_load_b64 s[22:23], s[0:1], 0x90
	s_mov_b32 s6, 0
	s_mov_b32 s7, s5
	s_delay_alu instid0(SALU_CYCLE_1)
	s_cmp_lg_u64 s[6:7], 0
	s_cbranch_scc0 .LBB17_11
; %bb.4:
	s_ashr_i32 s8, s5, 31
	s_delay_alu instid0(SALU_CYCLE_1) | instskip(SKIP_2) | instid1(SALU_CYCLE_1)
	s_add_u32 s10, s4, s8
	s_mov_b32 s9, s8
	s_addc_u32 s11, s5, s8
	s_xor_b64 s[8:9], s[10:11], s[8:9]
	s_delay_alu instid0(SALU_CYCLE_1) | instskip(SKIP_3) | instid1(VALU_DEP_1)
	v_cvt_f32_u32_e32 v3, s8
	v_cvt_f32_u32_e32 v4, s9
	s_sub_u32 s7, 0, s8
	s_subb_u32 s10, 0, s9
	v_fmamk_f32 v3, v4, 0x4f800000, v3
	s_delay_alu instid0(VALU_DEP_1) | instskip(SKIP_2) | instid1(VALU_DEP_1)
	v_rcp_f32_e32 v3, v3
	s_waitcnt_depctr 0xfff
	v_mul_f32_e32 v3, 0x5f7ffffc, v3
	v_mul_f32_e32 v4, 0x2f800000, v3
	s_delay_alu instid0(VALU_DEP_1) | instskip(NEXT) | instid1(VALU_DEP_1)
	v_trunc_f32_e32 v4, v4
	v_fmamk_f32 v3, v4, 0xcf800000, v3
	v_cvt_u32_f32_e32 v4, v4
	s_delay_alu instid0(VALU_DEP_2) | instskip(NEXT) | instid1(VALU_DEP_2)
	v_cvt_u32_f32_e32 v3, v3
	v_readfirstlane_b32 s3, v4
	s_delay_alu instid0(VALU_DEP_2) | instskip(NEXT) | instid1(VALU_DEP_2)
	v_readfirstlane_b32 s5, v3
	s_mul_i32 s11, s7, s3
	s_delay_alu instid0(VALU_DEP_1)
	s_mul_hi_u32 s24, s7, s5
	s_mul_i32 s12, s10, s5
	s_add_i32 s11, s24, s11
	s_mul_i32 s25, s7, s5
	s_add_i32 s11, s11, s12
	s_mul_hi_u32 s24, s5, s25
	s_mul_hi_u32 s26, s3, s25
	s_mul_i32 s12, s3, s25
	s_mul_hi_u32 s25, s5, s11
	s_mul_i32 s5, s5, s11
	s_mul_hi_u32 s27, s3, s11
	s_add_u32 s5, s24, s5
	s_addc_u32 s24, 0, s25
	s_add_u32 s5, s5, s12
	s_mul_i32 s11, s3, s11
	s_addc_u32 s5, s24, s26
	s_addc_u32 s12, s27, 0
	s_add_u32 s5, s5, s11
	s_addc_u32 s11, 0, s12
	v_add_co_u32 v3, s5, v3, s5
	s_delay_alu instid0(VALU_DEP_1) | instskip(SKIP_1) | instid1(VALU_DEP_1)
	s_cmp_lg_u32 s5, 0
	s_addc_u32 s3, s3, s11
	v_readfirstlane_b32 s5, v3
	s_mul_i32 s11, s7, s3
	s_delay_alu instid0(VALU_DEP_1)
	s_mul_hi_u32 s12, s7, s5
	s_mul_i32 s10, s10, s5
	s_add_i32 s11, s12, s11
	s_mul_i32 s7, s7, s5
	s_add_i32 s11, s11, s10
	s_mul_hi_u32 s12, s3, s7
	s_mul_i32 s24, s3, s7
	s_mul_hi_u32 s7, s5, s7
	s_mul_hi_u32 s25, s5, s11
	s_mul_i32 s5, s5, s11
	s_mul_hi_u32 s10, s3, s11
	s_add_u32 s5, s7, s5
	s_addc_u32 s7, 0, s25
	s_add_u32 s5, s5, s24
	s_mul_i32 s11, s3, s11
	s_addc_u32 s5, s7, s12
	s_addc_u32 s7, s10, 0
	s_add_u32 s5, s5, s11
	s_addc_u32 s7, 0, s7
	v_add_co_u32 v3, s5, v3, s5
	s_delay_alu instid0(VALU_DEP_1) | instskip(SKIP_1) | instid1(VALU_DEP_1)
	s_cmp_lg_u32 s5, 0
	s_addc_u32 s3, s3, s7
	v_readfirstlane_b32 s5, v3
	s_mul_i32 s7, s2, s3
	s_mul_hi_u32 s3, s2, s3
	s_delay_alu instid0(VALU_DEP_1) | instskip(NEXT) | instid1(SALU_CYCLE_1)
	s_mul_hi_u32 s5, s2, s5
	s_add_u32 s5, s5, s7
	s_addc_u32 s3, 0, s3
	s_add_u32 s5, s5, 0
	s_addc_u32 s3, s3, 0
	s_addc_u32 s5, 0, 0
	s_add_u32 s3, s3, 0
	s_addc_u32 s5, 0, s5
	s_mul_hi_u32 s7, s8, s3
	s_mul_i32 s5, s8, s5
	s_mul_i32 s10, s9, s3
	;; [unrolled: 1-line block ×3, first 2 shown]
	s_add_i32 s5, s7, s5
	v_sub_co_u32 v3, s3, s2, s3
	s_add_i32 s5, s5, s10
	s_delay_alu instid0(SALU_CYCLE_1) | instskip(SKIP_1) | instid1(VALU_DEP_1)
	s_sub_i32 s7, 0, s5
	s_cmp_lg_u32 s3, 0
	v_sub_co_u32 v4, s10, v3, s8
	s_subb_u32 s7, s7, s9
	s_cmp_lg_u32 s10, 0
	s_subb_u32 s11, s7, 0
	s_delay_alu instid0(VALU_DEP_1)
	v_cmp_le_u32_e32 vcc_lo, s8, v4
	s_cmp_ge_u32 s11, s9
	s_cselect_b32 s12, -1, 0
	s_cmp_eq_u32 s11, s9
	v_cndmask_b32_e64 v5, 0, -1, vcc_lo
	s_cselect_b32 vcc_lo, -1, 0
	s_cmp_lg_u32 s10, 0
	v_sub_co_u32 v6, s10, v4, s8
	s_subb_u32 s7, s7, s9
	s_cmp_lg_u32 s10, 0
	v_cndmask_b32_e32 v5, s12, v5, vcc_lo
	s_subb_u32 s7, s7, 0
	s_cmp_lg_u32 s3, 0
	v_cmp_le_u32_e32 vcc_lo, s8, v3
	s_subb_u32 s5, 0, s5
	s_delay_alu instid0(SALU_CYCLE_1)
	s_cmp_ge_u32 s5, s9
	v_cndmask_b32_e64 v7, 0, -1, vcc_lo
	s_cselect_b32 s8, -1, 0
	s_cmp_eq_u32 s5, s9
	v_cmp_ne_u32_e32 vcc_lo, 0, v5
	v_mov_b32_e32 v5, s7
	s_cselect_b32 s3, -1, 0
	s_delay_alu instid0(SALU_CYCLE_1) | instskip(SKIP_1) | instid1(VALU_DEP_3)
	v_cndmask_b32_e64 v7, s8, v7, s3
	v_cndmask_b32_e32 v4, v4, v6, vcc_lo
	v_cndmask_b32_e32 v5, s11, v5, vcc_lo
	s_delay_alu instid0(VALU_DEP_3) | instskip(NEXT) | instid1(VALU_DEP_3)
	v_cmp_ne_u32_e32 vcc_lo, 0, v7
	v_cndmask_b32_e32 v3, v3, v4, vcc_lo
	s_delay_alu instid0(VALU_DEP_3) | instskip(NEXT) | instid1(VALU_DEP_2)
	v_cndmask_b32_e32 v5, s5, v5, vcc_lo
	v_sub_co_u32 v3, vcc_lo, v3, 0
	s_delay_alu instid0(VALU_DEP_2)
	v_subrev_co_ci_u32_e32 v4, vcc_lo, 0, v5, vcc_lo
	s_and_not1_b32 vcc_lo, exec_lo, s6
	s_cbranch_vccnz .LBB17_6
.LBB17_5:
	v_cvt_f32_u32_e32 v3, s4
	s_sub_i32 s5, 0, s4
	s_delay_alu instid0(VALU_DEP_1) | instskip(SKIP_2) | instid1(VALU_DEP_1)
	v_rcp_iflag_f32_e32 v3, v3
	s_waitcnt_depctr 0xfff
	v_mul_f32_e32 v3, 0x4f7ffffe, v3
	v_cvt_u32_f32_e32 v3, v3
	s_delay_alu instid0(VALU_DEP_1) | instskip(NEXT) | instid1(VALU_DEP_1)
	v_readfirstlane_b32 s3, v3
	s_mul_i32 s5, s5, s3
	s_delay_alu instid0(SALU_CYCLE_1) | instskip(NEXT) | instid1(SALU_CYCLE_1)
	s_mul_hi_u32 s5, s3, s5
	s_add_i32 s3, s3, s5
	s_delay_alu instid0(SALU_CYCLE_1) | instskip(NEXT) | instid1(SALU_CYCLE_1)
	s_mul_hi_u32 s3, s2, s3
	s_mul_i32 s3, s3, s4
	s_delay_alu instid0(SALU_CYCLE_1) | instskip(NEXT) | instid1(SALU_CYCLE_1)
	s_sub_i32 s3, s2, s3
	s_sub_i32 s5, s3, s4
	s_cmp_ge_u32 s3, s4
	s_cselect_b32 s3, s5, s3
	s_mov_b32 s5, 0
	s_sub_i32 s6, s3, s4
	s_cmp_ge_u32 s3, s4
	s_cselect_b32 s4, s6, s3
	s_delay_alu instid0(SALU_CYCLE_1)
	v_dual_mov_b32 v3, s4 :: v_dual_mov_b32 v4, s5
.LBB17_6:
	s_load_b64 s[24:25], s[0:1], 0xa0
	s_waitcnt lgkmcnt(0)
	v_cmp_le_f32_e64 s3, s23, 0
	v_mov_b32_e32 v6, 1.0
	s_delay_alu instid0(VALU_DEP_2)
	s_and_b32 vcc_lo, exec_lo, s3
	s_cbranch_vccnz .LBB17_8
; %bb.7:
	s_clause 0x1
	s_load_b32 s3, s[0:1], 0x28
	s_load_b64 s[4:5], s[0:1], 0x98
	s_add_i32 s7, s14, 1
	s_waitcnt lgkmcnt(0)
	s_sub_i32 s6, s14, s3
	v_mov_b32_e32 v5, s4
	s_lshl_b32 s6, s6, 1
	s_delay_alu instid0(SALU_CYCLE_1)
	s_or_b32 s4, s6, 1
	s_cmp_lt_u32 s14, s3
	s_cselect_b32 vcc_lo, -1, 0
	v_cndmask_b32_e32 v7, s5, v5, vcc_lo
	s_and_b32 s3, vcc_lo, exec_lo
	s_cselect_b32 s3, s7, s4
	s_mov_b32 s4, 0x3e76c4e1
	v_cvt_f32_i32_e32 v5, s3
	v_cmp_neq_f32_e32 vcc_lo, 1.0, v7
	s_delay_alu instid0(VALU_DEP_2) | instskip(NEXT) | instid1(VALU_DEP_1)
	v_cndmask_b32_e32 v8, 1.0, v5, vcc_lo
	v_cmp_eq_f32_e32 vcc_lo, 0, v8
	v_cndmask_b32_e64 v9, |v7|, 1.0, vcc_lo
	s_delay_alu instid0(VALU_DEP_1) | instskip(NEXT) | instid1(VALU_DEP_1)
	v_frexp_mant_f32_e32 v5, v9
	v_cmp_gt_f32_e64 s3, 0x3f2aaaab, v5
	s_delay_alu instid0(VALU_DEP_1) | instskip(NEXT) | instid1(VALU_DEP_1)
	v_cndmask_b32_e64 v6, 1.0, 2.0, s3
	v_mul_f32_e32 v5, v5, v6
	s_delay_alu instid0(VALU_DEP_1) | instskip(SKIP_1) | instid1(VALU_DEP_2)
	v_add_f32_e32 v6, 1.0, v5
	v_add_f32_e32 v11, -1.0, v5
	v_rcp_f32_e32 v10, v6
	s_waitcnt_depctr 0xfff
	v_mul_f32_e32 v12, v11, v10
	s_delay_alu instid0(VALU_DEP_1) | instskip(NEXT) | instid1(VALU_DEP_1)
	v_dual_add_f32 v13, -1.0, v6 :: v_dual_mul_f32 v14, v6, v12
	v_sub_f32_e32 v5, v5, v13
	v_cndmask_b32_e64 v7, v7, 1.0, vcc_lo
	s_delay_alu instid0(VALU_DEP_3) | instskip(NEXT) | instid1(VALU_DEP_2)
	v_fma_f32 v6, v12, v6, -v14
	v_cmp_eq_f32_e64 s5, 0, v7
	s_delay_alu instid0(VALU_DEP_2) | instskip(NEXT) | instid1(VALU_DEP_1)
	v_fmac_f32_e32 v6, v12, v5
	v_add_f32_e32 v5, v14, v6
	s_delay_alu instid0(VALU_DEP_1) | instskip(NEXT) | instid1(VALU_DEP_1)
	v_dual_sub_f32 v14, v5, v14 :: v_dual_sub_f32 v13, v11, v5
	v_dual_sub_f32 v6, v14, v6 :: v_dual_sub_f32 v11, v11, v13
	s_delay_alu instid0(VALU_DEP_1) | instskip(NEXT) | instid1(VALU_DEP_1)
	v_sub_f32_e32 v5, v11, v5
	v_add_f32_e32 v5, v6, v5
	s_delay_alu instid0(VALU_DEP_1) | instskip(NEXT) | instid1(VALU_DEP_1)
	v_add_f32_e32 v5, v13, v5
	v_mul_f32_e32 v5, v10, v5
	s_delay_alu instid0(VALU_DEP_1) | instskip(NEXT) | instid1(VALU_DEP_1)
	v_add_f32_e32 v10, v12, v5
	v_sub_f32_e32 v6, v10, v12
	v_mul_f32_e32 v11, v10, v10
	s_delay_alu instid0(VALU_DEP_2) | instskip(NEXT) | instid1(VALU_DEP_2)
	v_sub_f32_e32 v12, v5, v6
	v_fma_f32 v13, v10, v10, -v11
	s_delay_alu instid0(VALU_DEP_2) | instskip(NEXT) | instid1(VALU_DEP_1)
	v_add_f32_e32 v5, v12, v12
	v_fmac_f32_e32 v13, v10, v5
	v_cvt_f64_f32_e32 v[5:6], v9
	s_delay_alu instid0(VALU_DEP_2) | instskip(NEXT) | instid1(VALU_DEP_1)
	v_add_f32_e32 v14, v11, v13
	v_fmaak_f32 v15, s4, v14, 0x3e91f4c4
	v_sub_f32_e32 v11, v14, v11
	v_mul_f32_e32 v18, v10, v14
	s_delay_alu instid0(VALU_DEP_3) | instskip(NEXT) | instid1(VALU_DEP_3)
	v_fmaak_f32 v15, v14, v15, 0x3ecccdef
	v_sub_f32_e32 v11, v13, v11
	s_delay_alu instid0(VALU_DEP_2) | instskip(NEXT) | instid1(VALU_DEP_1)
	v_mul_f32_e32 v16, v14, v15
	v_fma_f32 v13, v14, v15, -v16
	s_delay_alu instid0(VALU_DEP_1) | instskip(NEXT) | instid1(VALU_DEP_1)
	v_fmac_f32_e32 v13, v11, v15
	v_add_f32_e32 v15, v16, v13
	v_frexp_exp_i32_f64_e32 v5, v[5:6]
	s_delay_alu instid0(VALU_DEP_2) | instskip(NEXT) | instid1(VALU_DEP_1)
	v_sub_f32_e32 v16, v15, v16
	v_sub_f32_e32 v6, v13, v16
	v_fma_f32 v16, v14, v10, -v18
	s_delay_alu instid0(VALU_DEP_2) | instskip(NEXT) | instid1(VALU_DEP_2)
	v_add_f32_e32 v6, 0x31739010, v6
	v_dual_add_f32 v17, 0x3f2aaaaa, v15 :: v_dual_fmac_f32 v16, v14, v12
	v_ldexp_f32 v12, v12, 1
	s_delay_alu instid0(VALU_DEP_2) | instskip(NEXT) | instid1(VALU_DEP_1)
	v_dual_add_f32 v13, 0xbf2aaaaa, v17 :: v_dual_fmac_f32 v16, v11, v10
	v_sub_f32_e32 v13, v15, v13
	s_delay_alu instid0(VALU_DEP_1) | instskip(NEXT) | instid1(VALU_DEP_3)
	v_add_f32_e32 v6, v6, v13
	v_add_f32_e32 v13, v18, v16
	s_delay_alu instid0(VALU_DEP_2) | instskip(NEXT) | instid1(VALU_DEP_1)
	v_add_f32_e32 v11, v17, v6
	v_sub_f32_e32 v14, v17, v11
	s_delay_alu instid0(VALU_DEP_3) | instskip(SKIP_2) | instid1(VALU_DEP_4)
	v_mul_f32_e32 v15, v13, v11
	v_sub_f32_e32 v17, v13, v18
	v_subrev_co_ci_u32_e64 v5, s3, 0, v5, s3
	v_add_f32_e32 v6, v6, v14
	s_delay_alu instid0(VALU_DEP_4) | instskip(NEXT) | instid1(VALU_DEP_4)
	v_fma_f32 v14, v13, v11, -v15
	v_sub_f32_e32 v16, v16, v17
	s_delay_alu instid0(VALU_DEP_4) | instskip(NEXT) | instid1(VALU_DEP_3)
	v_cvt_f32_i32_e32 v5, v5
	v_fmac_f32_e32 v14, v13, v6
	v_ldexp_f32 v6, v10, 1
	s_delay_alu instid0(VALU_DEP_2) | instskip(NEXT) | instid1(VALU_DEP_1)
	v_fmac_f32_e32 v14, v16, v11
	v_add_f32_e32 v10, v15, v14
	s_delay_alu instid0(VALU_DEP_1) | instskip(NEXT) | instid1(VALU_DEP_1)
	v_add_f32_e32 v11, v6, v10
	v_dual_sub_f32 v6, v11, v6 :: v_dual_sub_f32 v13, v10, v15
	s_delay_alu instid0(VALU_DEP_1) | instskip(NEXT) | instid1(VALU_DEP_2)
	v_sub_f32_e32 v6, v10, v6
	v_sub_f32_e32 v13, v14, v13
	s_delay_alu instid0(VALU_DEP_1) | instskip(NEXT) | instid1(VALU_DEP_1)
	v_add_f32_e32 v10, v12, v13
	v_dual_mul_f32 v15, 0x3f317218, v5 :: v_dual_add_f32 v6, v10, v6
	s_delay_alu instid0(VALU_DEP_1) | instskip(NEXT) | instid1(VALU_DEP_2)
	v_fma_f32 v14, 0x3f317218, v5, -v15
	v_add_f32_e32 v12, v11, v6
	s_delay_alu instid0(VALU_DEP_1) | instskip(NEXT) | instid1(VALU_DEP_1)
	v_sub_f32_e32 v11, v12, v11
	v_dual_fmamk_f32 v5, v5, 0xb102e308, v14 :: v_dual_sub_f32 v6, v6, v11
	s_delay_alu instid0(VALU_DEP_1) | instskip(NEXT) | instid1(VALU_DEP_1)
	v_add_f32_e32 v10, v15, v5
	v_add_f32_e32 v13, v10, v12
	s_delay_alu instid0(VALU_DEP_1) | instskip(NEXT) | instid1(VALU_DEP_1)
	v_dual_sub_f32 v15, v10, v15 :: v_dual_sub_f32 v14, v13, v10
	v_sub_f32_e32 v16, v13, v14
	s_delay_alu instid0(VALU_DEP_2) | instskip(NEXT) | instid1(VALU_DEP_2)
	v_sub_f32_e32 v5, v5, v15
	v_dual_sub_f32 v11, v12, v14 :: v_dual_sub_f32 v10, v10, v16
	s_delay_alu instid0(VALU_DEP_2) | instskip(NEXT) | instid1(VALU_DEP_2)
	v_add_f32_e32 v12, v5, v6
	v_add_f32_e32 v10, v11, v10
	s_delay_alu instid0(VALU_DEP_1) | instskip(NEXT) | instid1(VALU_DEP_1)
	v_add_f32_e32 v10, v12, v10
	v_dual_sub_f32 v11, v12, v5 :: v_dual_add_f32 v14, v13, v10
	s_delay_alu instid0(VALU_DEP_1) | instskip(SKIP_1) | instid1(VALU_DEP_3)
	v_sub_f32_e32 v12, v12, v11
	v_sub_f32_e32 v6, v6, v11
	;; [unrolled: 1-line block ×3, first 2 shown]
	s_delay_alu instid0(VALU_DEP_3) | instskip(NEXT) | instid1(VALU_DEP_1)
	v_sub_f32_e32 v5, v5, v12
	v_add_f32_e32 v5, v6, v5
	s_delay_alu instid0(VALU_DEP_3) | instskip(NEXT) | instid1(VALU_DEP_1)
	v_sub_f32_e32 v6, v10, v11
	v_add_f32_e32 v5, v5, v6
	s_delay_alu instid0(VALU_DEP_1) | instskip(NEXT) | instid1(VALU_DEP_1)
	v_add_f32_e32 v6, v14, v5
	v_mul_f32_e32 v11, v8, v6
	v_sub_f32_e32 v10, v6, v14
	s_delay_alu instid0(VALU_DEP_2) | instskip(NEXT) | instid1(VALU_DEP_2)
	v_fma_f32 v6, v8, v6, -v11
	v_sub_f32_e32 v5, v5, v10
	v_cmp_class_f32_e64 s3, v11, 0x204
	s_delay_alu instid0(VALU_DEP_2) | instskip(NEXT) | instid1(VALU_DEP_1)
	v_fmac_f32_e32 v6, v8, v5
	v_add_f32_e32 v5, v11, v6
	s_delay_alu instid0(VALU_DEP_1) | instskip(NEXT) | instid1(VALU_DEP_1)
	v_cndmask_b32_e64 v10, v5, v11, s3
	v_cmp_eq_f32_e64 s3, 0x42b17218, v10
	s_delay_alu instid0(VALU_DEP_1) | instskip(SKIP_1) | instid1(VALU_DEP_2)
	v_cndmask_b32_e64 v12, 0, 0x37000000, s3
	v_cmp_neq_f32_e64 s3, 0x7f800000, |v10|
	v_sub_f32_e32 v13, v10, v12
	v_trunc_f32_e32 v10, v8
	s_delay_alu instid0(VALU_DEP_2) | instskip(NEXT) | instid1(VALU_DEP_1)
	v_mul_f32_e32 v14, 0x3fb8aa3b, v13
	v_fma_f32 v15, 0x3fb8aa3b, v13, -v14
	v_rndne_f32_e32 v16, v14
	s_delay_alu instid0(VALU_DEP_1) | instskip(NEXT) | instid1(VALU_DEP_1)
	v_dual_fmamk_f32 v15, v13, 0x32a5705f, v15 :: v_dual_sub_f32 v14, v14, v16
	v_add_f32_e32 v14, v14, v15
	v_sub_f32_e32 v5, v5, v11
	v_cvt_i32_f32_e32 v11, v16
	s_delay_alu instid0(VALU_DEP_3) | instskip(NEXT) | instid1(VALU_DEP_2)
	v_exp_f32_e32 v14, v14
	v_sub_f32_e32 v5, v6, v5
	s_delay_alu instid0(VALU_DEP_1)
	v_cndmask_b32_e64 v5, 0, v5, s3
	v_cmp_ngt_f32_e64 s3, 0xc2ce8ed0, v13
	s_waitcnt_depctr 0xfff
	v_ldexp_f32 v6, v14, v11
	v_mul_f32_e32 v11, 0.5, v8
	v_add_f32_e32 v5, v12, v5
	s_delay_alu instid0(VALU_DEP_3) | instskip(NEXT) | instid1(VALU_DEP_3)
	v_cndmask_b32_e64 v6, 0, v6, s3
	v_trunc_f32_e32 v14, v11
	v_cmp_nlt_f32_e64 s3, 0x42b17218, v13
	s_delay_alu instid0(VALU_DEP_2) | instskip(NEXT) | instid1(VALU_DEP_2)
	v_cmp_neq_f32_e64 s4, v14, v11
	v_cndmask_b32_e64 v6, 0x7f800000, v6, s3
	v_cmp_eq_f32_e64 s3, v10, v8
	s_delay_alu instid0(VALU_DEP_2) | instskip(NEXT) | instid1(VALU_DEP_2)
	v_fma_f32 v5, v6, v5, v6
	s_and_b32 vcc_lo, s3, s4
	v_cmp_class_f32_e64 s4, v6, 0x204
	v_cndmask_b32_e32 v10, 1.0, v7, vcc_lo
	s_delay_alu instid0(VALU_DEP_2) | instskip(SKIP_1) | instid1(VALU_DEP_2)
	v_cndmask_b32_e64 v5, v5, v6, s4
	v_cmp_gt_f32_e64 s4, 0, v8
	v_bfi_b32 v5, 0x7fffffff, v5, v10
	s_delay_alu instid0(VALU_DEP_2)
	s_xor_b32 s4, s4, s5
	v_cndmask_b32_e32 v10, 0, v7, vcc_lo
	v_cndmask_b32_e64 v6, 0x7f800000, 0, s4
	v_cmp_eq_f32_e32 vcc_lo, 0x7f800000, v9
	v_cndmask_b32_e64 v8, 0x7fc00000, v5, s3
	v_cmp_gt_f32_e64 s3, 0, v7
	s_delay_alu instid0(VALU_DEP_4) | instskip(SKIP_1) | instid1(VALU_DEP_2)
	v_bfi_b32 v6, 0x7fffffff, v6, v10
	s_or_b32 vcc_lo, vcc_lo, s5
	v_cndmask_b32_e64 v5, v5, v8, s3
	s_delay_alu instid0(VALU_DEP_1) | instskip(SKIP_1) | instid1(VALU_DEP_2)
	v_cndmask_b32_e32 v5, v5, v6, vcc_lo
	v_cmp_o_f32_e32 vcc_lo, v7, v7
	v_cndmask_b32_e32 v6, 0x7fc00000, v5, vcc_lo
.LBB17_8:
	s_load_b256 s[4:11], s[0:1], 0x0
	s_waitcnt lgkmcnt(0)
	s_cmp_lg_u64 s[8:9], 0
	s_cselect_b32 s12, -1, 0
	s_cmp_eq_u64 s[8:9], 0
	s_cbranch_scc1 .LBB17_12
; %bb.9:
	s_lshl_b64 s[0:1], s[14:15], 2
	s_delay_alu instid0(SALU_CYCLE_1)
	s_add_u32 s0, s8, s0
	s_addc_u32 s1, s9, s1
	s_load_b32 s0, s[0:1], 0x0
	s_branch .LBB17_13
.LBB17_10:
                                        ; implicit-def: $vgpr1_vgpr2
	s_branch .LBB17_2
.LBB17_11:
                                        ; implicit-def: $vgpr3_vgpr4
	s_branch .LBB17_5
.LBB17_12:
	s_mov_b32 s0, 0xff800000
.LBB17_13:
	s_mul_i32 s1, s25, s2
	v_dual_mov_b32 v8, 0 :: v_dual_lshlrev_b32 v5, 2, v0
	s_add_i32 s1, s1, s14
	s_delay_alu instid0(SALU_CYCLE_1) | instskip(NEXT) | instid1(SALU_CYCLE_1)
	s_mul_i32 s1, s1, s24
	s_add_i32 s2, s1, s13
	s_delay_alu instid0(SALU_CYCLE_1) | instskip(NEXT) | instid1(SALU_CYCLE_1)
	s_ashr_i32 s3, s2, 31
	s_lshl_b64 s[24:25], s[2:3], 11
	s_delay_alu instid0(SALU_CYCLE_1)
	s_add_u32 s4, s4, s24
	s_addc_u32 s5, s5, s25
	s_cmp_eq_u64 s[6:7], 0
	global_load_b32 v7, v5, s[4:5]
	s_cselect_b32 s1, -1, 0
	s_cmp_lg_u64 s[6:7], 0
	s_cbranch_scc0 .LBB17_15
; %bb.14:
	v_mul_lo_u32 v8, v1, s19
	v_mul_hi_u32 v9, v1, s18
	v_mul_lo_u32 v10, v3, s21
	v_mul_hi_u32 v11, v3, s20
	v_mul_lo_u32 v2, v2, s18
	v_mul_lo_u32 v1, v1, s18
	;; [unrolled: 1-line block ×4, first 2 shown]
	s_mul_i32 s4, s17, s13
	v_add_nc_u32_e32 v8, v9, v8
	s_mul_hi_u32 s5, s16, s13
	v_add_nc_u32_e32 v9, v11, v10
	s_mul_i32 s13, s16, s13
	s_add_i32 s5, s5, s4
	v_add_nc_u32_e32 v2, v8, v2
	v_add_co_u32 v1, vcc_lo, v1, s13
	v_add_nc_u32_e32 v4, v9, v4
	s_delay_alu instid0(VALU_DEP_3) | instskip(NEXT) | instid1(VALU_DEP_3)
	v_add_co_ci_u32_e32 v2, vcc_lo, s5, v2, vcc_lo
	v_add_co_u32 v1, vcc_lo, v1, v3
	s_delay_alu instid0(VALU_DEP_2) | instskip(NEXT) | instid1(VALU_DEP_1)
	v_add_co_ci_u32_e32 v2, vcc_lo, v2, v4, vcc_lo
	v_lshrrev_b64 v[1:2], 2, v[1:2]
	s_delay_alu instid0(VALU_DEP_1) | instskip(NEXT) | instid1(VALU_DEP_2)
	v_cndmask_b32_e64 v2, v2, 0, s1
	v_cndmask_b32_e64 v1, v1, 0, s1
	s_delay_alu instid0(VALU_DEP_1) | instskip(NEXT) | instid1(VALU_DEP_1)
	v_lshlrev_b64 v[1:2], 2, v[1:2]
	v_add_co_u32 v1, vcc_lo, s6, v1
	s_delay_alu instid0(VALU_DEP_2) | instskip(NEXT) | instid1(VALU_DEP_2)
	v_add_co_ci_u32_e32 v2, vcc_lo, s7, v2, vcc_lo
	v_readfirstlane_b32 s4, v1
	s_delay_alu instid0(VALU_DEP_2)
	v_readfirstlane_b32 s5, v2
	global_load_b32 v1, v5, s[4:5]
	s_waitcnt vmcnt(0)
	v_mul_f32_e32 v8, v6, v1
.LBB17_15:
	v_mbcnt_lo_u32_b32 v1, -1, 0
	s_waitcnt lgkmcnt(0)
	v_max_f32_e64 v3, s0, s0
	s_delay_alu instid0(VALU_DEP_2) | instskip(SKIP_1) | instid1(VALU_DEP_2)
	v_xor_b32_e32 v2, 16, v1
	v_xor_b32_e32 v6, 8, v1
	v_cmp_gt_i32_e32 vcc_lo, 32, v2
	v_cndmask_b32_e32 v2, v1, v2, vcc_lo
	s_delay_alu instid0(VALU_DEP_3) | instskip(NEXT) | instid1(VALU_DEP_2)
	v_cmp_gt_i32_e32 vcc_lo, 32, v6
	v_lshlrev_b32_e32 v2, 2, v2
	v_cndmask_b32_e32 v6, v1, v6, vcc_lo
	s_waitcnt vmcnt(0)
	v_fmac_f32_e32 v8, s22, v7
	s_delay_alu instid0(VALU_DEP_1) | instskip(SKIP_3) | instid1(VALU_DEP_1)
	v_max_f32_e32 v4, v3, v8
	ds_bpermute_b32 v3, v2, v4
	s_waitcnt lgkmcnt(0)
	v_max_f32_e32 v7, v3, v3
	v_dual_max_f32 v6, v4, v7 :: v_dual_lshlrev_b32 v3, 2, v6
	v_xor_b32_e32 v7, 4, v1
	ds_bpermute_b32 v4, v3, v6
	v_cmp_gt_i32_e32 vcc_lo, 32, v7
	v_cndmask_b32_e32 v7, v1, v7, vcc_lo
	s_waitcnt lgkmcnt(0)
	s_delay_alu instid0(VALU_DEP_1) | instskip(NEXT) | instid1(VALU_DEP_1)
	v_dual_max_f32 v9, v4, v4 :: v_dual_lshlrev_b32 v4, 2, v7
	v_max_f32_e32 v7, v6, v9
	v_xor_b32_e32 v9, 2, v1
	ds_bpermute_b32 v6, v4, v7
	v_cmp_gt_i32_e32 vcc_lo, 32, v9
	s_waitcnt lgkmcnt(0)
	v_dual_cndmask_b32 v9, v1, v9 :: v_dual_max_f32 v10, v6, v6
	s_delay_alu instid0(VALU_DEP_1)
	v_dual_max_f32 v7, v7, v10 :: v_dual_lshlrev_b32 v6, 2, v9
	v_xor_b32_e32 v10, 1, v1
	ds_bpermute_b32 v9, v6, v7
	v_cmp_gt_i32_e32 vcc_lo, 32, v10
	s_waitcnt lgkmcnt(0)
	v_max_f32_e32 v9, v9, v9
	s_delay_alu instid0(VALU_DEP_1) | instskip(NEXT) | instid1(VALU_DEP_1)
	v_dual_cndmask_b32 v1, v1, v10 :: v_dual_max_f32 v10, v7, v9
	v_lshlrev_b32_e32 v7, 2, v1
	v_and_b32_e32 v9, 31, v0
	v_lshl_add_u32 v1, v0, 2, 0
	v_lshrrev_b32_e32 v0, 3, v0
	ds_bpermute_b32 v11, v7, v10
	v_cmp_eq_u32_e32 vcc_lo, 0, v9
	ds_store_b32 v1, v8 offset:128
	s_and_saveexec_b32 s0, vcc_lo
	s_delay_alu instid0(SALU_CYCLE_1)
	s_xor_b32 s0, exec_lo, s0
	s_cbranch_execz .LBB17_17
; %bb.16:
	s_waitcnt lgkmcnt(1)
	v_max_f32_e32 v8, v11, v11
	v_max_f32_e32 v10, v10, v10
	s_delay_alu instid0(VALU_DEP_1)
	v_max_f32_e32 v8, v10, v8
	v_add_nc_u32_e32 v10, 0, v0
	ds_store_b32 v10, v8
.LBB17_17:
	s_or_b32 exec_lo, exec_lo, s0
	v_cmp_gt_u32_e64 s0, 16, v9
	v_mov_b32_e32 v10, 0xff800000
	v_lshl_add_u32 v8, v9, 2, 0
	s_waitcnt lgkmcnt(0)
	s_barrier
	buffer_gl0_inv
	s_and_saveexec_b32 s1, s0
	s_cbranch_execz .LBB17_19
; %bb.18:
	ds_load_b32 v10, v8
.LBB17_19:
	s_or_b32 exec_lo, exec_lo, s1
	s_waitcnt lgkmcnt(0)
	ds_bpermute_b32 v9, v2, v10
	v_max_f32_e32 v10, v10, v10
	ds_load_b32 v11, v1 offset:128
	s_waitcnt lgkmcnt(1)
	v_max_f32_e32 v9, v9, v9
	s_delay_alu instid0(VALU_DEP_1) | instskip(SKIP_3) | instid1(VALU_DEP_1)
	v_max_f32_e32 v9, v10, v9
	ds_bpermute_b32 v10, v3, v9
	s_waitcnt lgkmcnt(0)
	v_max_f32_e32 v10, v10, v10
	v_max_f32_e32 v9, v9, v10
	ds_bpermute_b32 v10, v4, v9
	s_waitcnt lgkmcnt(0)
	v_max_f32_e32 v10, v10, v10
	s_delay_alu instid0(VALU_DEP_1) | instskip(SKIP_3) | instid1(VALU_DEP_1)
	v_max_f32_e32 v9, v9, v10
	ds_bpermute_b32 v10, v6, v9
	s_waitcnt lgkmcnt(0)
	v_max_f32_e32 v10, v10, v10
	v_max_f32_e32 v9, v9, v10
	ds_bpermute_b32 v10, v7, v9
	s_waitcnt lgkmcnt(0)
	v_max_f32_e32 v10, v10, v10
	s_delay_alu instid0(VALU_DEP_1) | instskip(NEXT) | instid1(VALU_DEP_1)
	v_max_f32_e32 v9, v9, v10
	v_sub_f32_e32 v10, v11, v9
	s_delay_alu instid0(VALU_DEP_1) | instskip(SKIP_1) | instid1(VALU_DEP_2)
	v_mul_f32_e32 v11, 0x3fb8aa3b, v10
	v_cmp_ngt_f32_e64 s1, 0xc2ce8ed0, v10
	v_fma_f32 v12, 0x3fb8aa3b, v10, -v11
	v_rndne_f32_e32 v13, v11
	s_delay_alu instid0(VALU_DEP_1) | instskip(NEXT) | instid1(VALU_DEP_1)
	v_dual_fmamk_f32 v12, v10, 0x32a5705f, v12 :: v_dual_sub_f32 v11, v11, v13
	v_add_f32_e32 v11, v11, v12
	v_cvt_i32_f32_e32 v12, v13
	s_delay_alu instid0(VALU_DEP_2) | instskip(SKIP_2) | instid1(VALU_DEP_1)
	v_exp_f32_e32 v11, v11
	s_waitcnt_depctr 0xfff
	v_ldexp_f32 v11, v11, v12
	v_cndmask_b32_e64 v11, 0, v11, s1
	v_cmp_nlt_f32_e64 s1, 0x42b17218, v10
	s_delay_alu instid0(VALU_DEP_1)
	v_cndmask_b32_e64 v12, 0x7f800000, v11, s1
	ds_bpermute_b32 v10, v2, v12
	ds_store_b32 v1, v12 offset:128
	s_waitcnt lgkmcnt(1)
	v_add_f32_e32 v10, v12, v10
	ds_bpermute_b32 v11, v3, v10
	s_waitcnt lgkmcnt(0)
	v_add_f32_e32 v10, v10, v11
	ds_bpermute_b32 v11, v4, v10
	;; [unrolled: 3-line block ×4, first 2 shown]
	s_and_saveexec_b32 s1, vcc_lo
	s_cbranch_execz .LBB17_21
; %bb.20:
	s_waitcnt lgkmcnt(0)
	v_add_f32_e32 v10, v10, v11
	v_add_nc_u32_e32 v0, 0, v0
	ds_store_b32 v0, v10
.LBB17_21:
	s_or_b32 exec_lo, exec_lo, s1
	v_mov_b32_e32 v0, 0
	s_waitcnt lgkmcnt(0)
	s_barrier
	buffer_gl0_inv
	s_and_saveexec_b32 s1, s0
	s_cbranch_execz .LBB17_23
; %bb.22:
	ds_load_b32 v0, v8
.LBB17_23:
	s_or_b32 exec_lo, exec_lo, s1
	s_waitcnt lgkmcnt(0)
	ds_bpermute_b32 v2, v2, v0
	s_and_not1_b32 vcc_lo, exec_lo, s12
	s_lshl_b64 s[0:1], s[2:3], 9
	s_waitcnt lgkmcnt(0)
	v_add_f32_e32 v0, v0, v2
	ds_bpermute_b32 v2, v3, v0
	s_waitcnt lgkmcnt(0)
	v_add_f32_e32 v0, v0, v2
	ds_bpermute_b32 v2, v4, v0
	;; [unrolled: 3-line block ×4, first 2 shown]
	s_waitcnt lgkmcnt(0)
	v_add_f32_e32 v0, v0, v2
	s_cbranch_vccnz .LBB17_25
; %bb.24:
	s_lshl_b64 s[2:3], s[14:15], 2
	s_delay_alu instid0(SALU_CYCLE_1) | instskip(SKIP_4) | instid1(VALU_DEP_1)
	s_add_u32 s2, s8, s2
	s_addc_u32 s3, s9, s3
	s_load_b32 s2, s[2:3], 0x0
	s_waitcnt lgkmcnt(0)
	v_sub_f32_e32 v2, s2, v9
	v_mul_f32_e32 v3, 0x3fb8aa3b, v2
	s_delay_alu instid0(VALU_DEP_1) | instskip(SKIP_1) | instid1(VALU_DEP_1)
	v_fma_f32 v4, 0x3fb8aa3b, v2, -v3
	v_rndne_f32_e32 v6, v3
	v_sub_f32_e32 v3, v3, v6
	v_cmp_ngt_f32_e32 vcc_lo, 0xc2ce8ed0, v2
	s_delay_alu instid0(VALU_DEP_4) | instskip(NEXT) | instid1(VALU_DEP_1)
	v_fmamk_f32 v4, v2, 0x32a5705f, v4
	v_add_f32_e32 v3, v3, v4
	v_cvt_i32_f32_e32 v4, v6
	s_delay_alu instid0(VALU_DEP_2) | instskip(SKIP_2) | instid1(VALU_DEP_1)
	v_exp_f32_e32 v3, v3
	s_waitcnt_depctr 0xfff
	v_ldexp_f32 v3, v3, v4
	v_cndmask_b32_e32 v3, 0, v3, vcc_lo
	v_cmp_nlt_f32_e32 vcc_lo, 0x42b17218, v2
	s_delay_alu instid0(VALU_DEP_2) | instskip(NEXT) | instid1(VALU_DEP_1)
	v_cndmask_b32_e32 v2, 0x7f800000, v3, vcc_lo
	v_add_f32_e32 v0, v0, v2
.LBB17_25:
	s_delay_alu instid0(VALU_DEP_1) | instskip(SKIP_4) | instid1(SALU_CYCLE_1)
	v_div_scale_f32 v2, null, v0, v0, 1.0
	v_div_scale_f32 v6, vcc_lo, 1.0, v0, 1.0
	ds_load_b32 v1, v1 offset:128
	v_rcp_f32_e32 v3, v2
	s_lshl_b64 s[0:1], s[0:1], 2
	s_add_u32 s0, s10, s0
	s_addc_u32 s1, s11, s1
	s_waitcnt_depctr 0xfff
	v_fma_f32 v4, -v2, v3, 1.0
	s_delay_alu instid0(VALU_DEP_1) | instskip(NEXT) | instid1(VALU_DEP_1)
	v_fmac_f32_e32 v3, v4, v3
	v_mul_f32_e32 v4, v6, v3
	s_delay_alu instid0(VALU_DEP_1) | instskip(NEXT) | instid1(VALU_DEP_1)
	v_fma_f32 v7, -v2, v4, v6
	v_fmac_f32_e32 v4, v7, v3
	s_delay_alu instid0(VALU_DEP_1) | instskip(NEXT) | instid1(VALU_DEP_1)
	v_fma_f32 v2, -v2, v4, v6
	v_div_fmas_f32 v2, v2, v3, v4
	s_delay_alu instid0(VALU_DEP_1) | instskip(SKIP_1) | instid1(VALU_DEP_1)
	v_div_fixup_f32 v0, v2, v0, 1.0
	s_waitcnt lgkmcnt(0)
	v_mul_f32_e32 v0, v1, v0
	global_store_b32 v5, v0, s[0:1]
	s_nop 0
	s_sendmsg sendmsg(MSG_DEALLOC_VGPRS)
	s_endpgm
	.section	.rodata,"a",@progbits
	.p2align	6, 0x0
	.amdhsa_kernel _ZL12soft_max_f32ILb1ELi512ELi512EfEvPKfPKT2_S1_Pf15soft_max_params
		.amdhsa_group_segment_fixed_size 0
		.amdhsa_private_segment_fixed_size 0
		.amdhsa_kernarg_size 416
		.amdhsa_user_sgpr_count 13
		.amdhsa_user_sgpr_dispatch_ptr 0
		.amdhsa_user_sgpr_queue_ptr 0
		.amdhsa_user_sgpr_kernarg_segment_ptr 1
		.amdhsa_user_sgpr_dispatch_id 0
		.amdhsa_user_sgpr_private_segment_size 0
		.amdhsa_wavefront_size32 1
		.amdhsa_uses_dynamic_stack 0
		.amdhsa_enable_private_segment 0
		.amdhsa_system_sgpr_workgroup_id_x 1
		.amdhsa_system_sgpr_workgroup_id_y 1
		.amdhsa_system_sgpr_workgroup_id_z 1
		.amdhsa_system_sgpr_workgroup_info 0
		.amdhsa_system_vgpr_workitem_id 0
		.amdhsa_next_free_vgpr 19
		.amdhsa_next_free_sgpr 28
		.amdhsa_reserve_vcc 1
		.amdhsa_float_round_mode_32 0
		.amdhsa_float_round_mode_16_64 0
		.amdhsa_float_denorm_mode_32 3
		.amdhsa_float_denorm_mode_16_64 3
		.amdhsa_dx10_clamp 1
		.amdhsa_ieee_mode 1
		.amdhsa_fp16_overflow 0
		.amdhsa_workgroup_processor_mode 1
		.amdhsa_memory_ordered 1
		.amdhsa_forward_progress 0
		.amdhsa_shared_vgpr_count 0
		.amdhsa_exception_fp_ieee_invalid_op 0
		.amdhsa_exception_fp_denorm_src 0
		.amdhsa_exception_fp_ieee_div_zero 0
		.amdhsa_exception_fp_ieee_overflow 0
		.amdhsa_exception_fp_ieee_underflow 0
		.amdhsa_exception_fp_ieee_inexact 0
		.amdhsa_exception_int_div_zero 0
	.end_amdhsa_kernel
	.section	.text._ZL12soft_max_f32ILb1ELi512ELi512EfEvPKfPKT2_S1_Pf15soft_max_params,"axG",@progbits,_ZL12soft_max_f32ILb1ELi512ELi512EfEvPKfPKT2_S1_Pf15soft_max_params,comdat
.Lfunc_end17:
	.size	_ZL12soft_max_f32ILb1ELi512ELi512EfEvPKfPKT2_S1_Pf15soft_max_params, .Lfunc_end17-_ZL12soft_max_f32ILb1ELi512ELi512EfEvPKfPKT2_S1_Pf15soft_max_params
                                        ; -- End function
	.section	.AMDGPU.csdata,"",@progbits
; Kernel info:
; codeLenInByte = 4296
; NumSgprs: 30
; NumVgprs: 19
; ScratchSize: 0
; MemoryBound: 0
; FloatMode: 240
; IeeeMode: 1
; LDSByteSize: 0 bytes/workgroup (compile time only)
; SGPRBlocks: 3
; VGPRBlocks: 2
; NumSGPRsForWavesPerEU: 30
; NumVGPRsForWavesPerEU: 19
; Occupancy: 16
; WaveLimiterHint : 1
; COMPUTE_PGM_RSRC2:SCRATCH_EN: 0
; COMPUTE_PGM_RSRC2:USER_SGPR: 13
; COMPUTE_PGM_RSRC2:TRAP_HANDLER: 0
; COMPUTE_PGM_RSRC2:TGID_X_EN: 1
; COMPUTE_PGM_RSRC2:TGID_Y_EN: 1
; COMPUTE_PGM_RSRC2:TGID_Z_EN: 1
; COMPUTE_PGM_RSRC2:TIDIG_COMP_CNT: 0
	.section	.text._ZL12soft_max_f32ILb1ELi256ELi256EfEvPKfPKT2_S1_Pf15soft_max_params,"axG",@progbits,_ZL12soft_max_f32ILb1ELi256ELi256EfEvPKfPKT2_S1_Pf15soft_max_params,comdat
	.globl	_ZL12soft_max_f32ILb1ELi256ELi256EfEvPKfPKT2_S1_Pf15soft_max_params ; -- Begin function _ZL12soft_max_f32ILb1ELi256ELi256EfEvPKfPKT2_S1_Pf15soft_max_params
	.p2align	8
	.type	_ZL12soft_max_f32ILb1ELi256ELi256EfEvPKfPKT2_S1_Pf15soft_max_params,@function
_ZL12soft_max_f32ILb1ELi256ELi256EfEvPKfPKT2_S1_Pf15soft_max_params: ; @_ZL12soft_max_f32ILb1ELi256ELi256EfEvPKfPKT2_S1_Pf15soft_max_params
; %bb.0:
	s_clause 0x1
	s_load_b256 s[16:23], s[0:1], 0x68
	s_load_b64 s[4:5], s[0:1], 0x88
	s_mov_b32 s2, s15
	s_mov_b32 s15, 0
	s_delay_alu instid0(SALU_CYCLE_1) | instskip(SKIP_2) | instid1(SALU_CYCLE_1)
	s_mov_b32 s6, s15
	s_waitcnt lgkmcnt(0)
	s_mov_b32 s7, s23
	s_cmp_lg_u64 s[6:7], 0
	s_cbranch_scc0 .LBB18_10
; %bb.1:
	s_ashr_i32 s6, s23, 31
	s_delay_alu instid0(SALU_CYCLE_1) | instskip(SKIP_2) | instid1(SALU_CYCLE_1)
	s_add_u32 s8, s22, s6
	s_mov_b32 s7, s6
	s_addc_u32 s9, s23, s6
	s_xor_b64 s[6:7], s[8:9], s[6:7]
	s_delay_alu instid0(SALU_CYCLE_1) | instskip(SKIP_3) | instid1(VALU_DEP_1)
	v_cvt_f32_u32_e32 v1, s6
	v_cvt_f32_u32_e32 v2, s7
	s_sub_u32 s9, 0, s6
	s_subb_u32 s10, 0, s7
	v_fmamk_f32 v1, v2, 0x4f800000, v1
	s_delay_alu instid0(VALU_DEP_1) | instskip(SKIP_2) | instid1(VALU_DEP_1)
	v_rcp_f32_e32 v1, v1
	s_waitcnt_depctr 0xfff
	v_mul_f32_e32 v1, 0x5f7ffffc, v1
	v_mul_f32_e32 v2, 0x2f800000, v1
	s_delay_alu instid0(VALU_DEP_1) | instskip(NEXT) | instid1(VALU_DEP_1)
	v_trunc_f32_e32 v2, v2
	v_fmamk_f32 v1, v2, 0xcf800000, v1
	v_cvt_u32_f32_e32 v2, v2
	s_delay_alu instid0(VALU_DEP_2) | instskip(NEXT) | instid1(VALU_DEP_2)
	v_cvt_u32_f32_e32 v1, v1
	v_readfirstlane_b32 s3, v2
	s_delay_alu instid0(VALU_DEP_2) | instskip(NEXT) | instid1(VALU_DEP_2)
	v_readfirstlane_b32 s8, v1
	s_mul_i32 s11, s9, s3
	s_delay_alu instid0(VALU_DEP_1)
	s_mul_hi_u32 s23, s9, s8
	s_mul_i32 s12, s10, s8
	s_add_i32 s11, s23, s11
	s_mul_i32 s24, s9, s8
	s_add_i32 s11, s11, s12
	s_mul_hi_u32 s23, s8, s24
	s_mul_hi_u32 s25, s3, s24
	s_mul_i32 s12, s3, s24
	s_mul_hi_u32 s24, s8, s11
	s_mul_i32 s8, s8, s11
	s_mul_hi_u32 s26, s3, s11
	s_add_u32 s8, s23, s8
	s_addc_u32 s23, 0, s24
	s_add_u32 s8, s8, s12
	s_mul_i32 s11, s3, s11
	s_addc_u32 s8, s23, s25
	s_addc_u32 s12, s26, 0
	s_add_u32 s8, s8, s11
	s_addc_u32 s11, 0, s12
	v_add_co_u32 v1, s8, v1, s8
	s_delay_alu instid0(VALU_DEP_1) | instskip(SKIP_1) | instid1(VALU_DEP_1)
	s_cmp_lg_u32 s8, 0
	s_addc_u32 s3, s3, s11
	v_readfirstlane_b32 s8, v1
	s_mul_i32 s11, s9, s3
	s_delay_alu instid0(VALU_DEP_1)
	s_mul_hi_u32 s12, s9, s8
	s_mul_i32 s10, s10, s8
	s_add_i32 s11, s12, s11
	s_mul_i32 s9, s9, s8
	s_add_i32 s11, s11, s10
	s_mul_hi_u32 s12, s3, s9
	s_mul_i32 s23, s3, s9
	s_mul_hi_u32 s9, s8, s9
	s_mul_hi_u32 s24, s8, s11
	s_mul_i32 s8, s8, s11
	s_mul_hi_u32 s10, s3, s11
	s_add_u32 s8, s9, s8
	s_addc_u32 s9, 0, s24
	s_add_u32 s8, s8, s23
	s_mul_i32 s11, s3, s11
	s_addc_u32 s8, s9, s12
	s_addc_u32 s9, s10, 0
	s_add_u32 s8, s8, s11
	s_addc_u32 s9, 0, s9
	v_add_co_u32 v1, s8, v1, s8
	s_delay_alu instid0(VALU_DEP_1) | instskip(SKIP_1) | instid1(VALU_DEP_1)
	s_cmp_lg_u32 s8, 0
	s_addc_u32 s3, s3, s9
	v_readfirstlane_b32 s8, v1
	s_mul_i32 s9, s14, s3
	s_mul_hi_u32 s3, s14, s3
	s_delay_alu instid0(VALU_DEP_1) | instskip(NEXT) | instid1(SALU_CYCLE_1)
	s_mul_hi_u32 s8, s14, s8
	s_add_u32 s8, s8, s9
	s_addc_u32 s3, 0, s3
	s_add_u32 s8, s8, 0
	s_addc_u32 s3, s3, 0
	s_addc_u32 s8, 0, 0
	s_add_u32 s3, s3, 0
	s_addc_u32 s8, 0, s8
	s_mul_hi_u32 s9, s6, s3
	s_mul_i32 s8, s6, s8
	s_mul_i32 s10, s7, s3
	s_mul_i32 s3, s6, s3
	s_add_i32 s8, s9, s8
	v_sub_co_u32 v1, s3, s14, s3
	s_add_i32 s8, s8, s10
	s_delay_alu instid0(SALU_CYCLE_1) | instskip(SKIP_1) | instid1(VALU_DEP_1)
	s_sub_i32 s9, 0, s8
	s_cmp_lg_u32 s3, 0
	v_sub_co_u32 v2, s10, v1, s6
	s_subb_u32 s9, s9, s7
	s_cmp_lg_u32 s10, 0
	s_subb_u32 s11, s9, 0
	s_delay_alu instid0(VALU_DEP_1)
	v_cmp_le_u32_e32 vcc_lo, s6, v2
	s_cmp_ge_u32 s11, s7
	s_cselect_b32 s12, -1, 0
	s_cmp_eq_u32 s11, s7
	v_cndmask_b32_e64 v3, 0, -1, vcc_lo
	s_cselect_b32 vcc_lo, -1, 0
	s_cmp_lg_u32 s10, 0
	v_sub_co_u32 v4, s10, v2, s6
	s_subb_u32 s9, s9, s7
	s_cmp_lg_u32 s10, 0
	v_cndmask_b32_e32 v3, s12, v3, vcc_lo
	s_subb_u32 s9, s9, 0
	s_cmp_lg_u32 s3, 0
	v_cmp_le_u32_e32 vcc_lo, s6, v1
	s_subb_u32 s8, 0, s8
	s_delay_alu instid0(SALU_CYCLE_1)
	s_cmp_ge_u32 s8, s7
	v_cndmask_b32_e64 v5, 0, -1, vcc_lo
	s_cselect_b32 s6, -1, 0
	s_cmp_eq_u32 s8, s7
	v_cmp_ne_u32_e32 vcc_lo, 0, v3
	v_mov_b32_e32 v3, s9
	s_cselect_b32 s3, -1, 0
	s_delay_alu instid0(SALU_CYCLE_1) | instskip(SKIP_1) | instid1(VALU_DEP_3)
	v_cndmask_b32_e64 v5, s6, v5, s3
	v_cndmask_b32_e32 v2, v2, v4, vcc_lo
	v_cndmask_b32_e32 v3, s11, v3, vcc_lo
	s_mov_b32 s3, s15
	s_delay_alu instid0(VALU_DEP_3) | instskip(NEXT) | instid1(VALU_DEP_3)
	v_cmp_ne_u32_e32 vcc_lo, 0, v5
	v_cndmask_b32_e32 v1, v1, v2, vcc_lo
	s_delay_alu instid0(VALU_DEP_3) | instskip(NEXT) | instid1(VALU_DEP_2)
	v_cndmask_b32_e32 v3, s8, v3, vcc_lo
	v_sub_co_u32 v1, vcc_lo, v1, 0
	s_delay_alu instid0(VALU_DEP_2)
	v_subrev_co_ci_u32_e32 v2, vcc_lo, 0, v3, vcc_lo
	s_and_not1_b32 vcc_lo, exec_lo, s3
	s_cbranch_vccnz .LBB18_3
.LBB18_2:
	v_cvt_f32_u32_e32 v1, s22
	s_mov_b32 s7, 0
	s_sub_i32 s6, 0, s22
	s_delay_alu instid0(VALU_DEP_1) | instskip(SKIP_2) | instid1(VALU_DEP_1)
	v_rcp_iflag_f32_e32 v1, v1
	s_waitcnt_depctr 0xfff
	v_mul_f32_e32 v1, 0x4f7ffffe, v1
	v_cvt_u32_f32_e32 v1, v1
	s_delay_alu instid0(VALU_DEP_1) | instskip(NEXT) | instid1(VALU_DEP_1)
	v_readfirstlane_b32 s3, v1
	s_mul_i32 s6, s6, s3
	s_delay_alu instid0(SALU_CYCLE_1) | instskip(NEXT) | instid1(SALU_CYCLE_1)
	s_mul_hi_u32 s6, s3, s6
	s_add_i32 s3, s3, s6
	s_delay_alu instid0(SALU_CYCLE_1) | instskip(NEXT) | instid1(SALU_CYCLE_1)
	s_mul_hi_u32 s3, s14, s3
	s_mul_i32 s3, s3, s22
	s_delay_alu instid0(SALU_CYCLE_1) | instskip(NEXT) | instid1(SALU_CYCLE_1)
	s_sub_i32 s3, s14, s3
	s_sub_i32 s6, s3, s22
	s_cmp_ge_u32 s3, s22
	s_cselect_b32 s3, s6, s3
	s_delay_alu instid0(SALU_CYCLE_1) | instskip(SKIP_2) | instid1(SALU_CYCLE_1)
	s_sub_i32 s6, s3, s22
	s_cmp_ge_u32 s3, s22
	s_cselect_b32 s6, s6, s3
	v_dual_mov_b32 v1, s6 :: v_dual_mov_b32 v2, s7
.LBB18_3:
	s_load_b64 s[22:23], s[0:1], 0x90
	s_mov_b32 s6, 0
	s_mov_b32 s7, s5
	s_delay_alu instid0(SALU_CYCLE_1)
	s_cmp_lg_u64 s[6:7], 0
	s_cbranch_scc0 .LBB18_11
; %bb.4:
	s_ashr_i32 s8, s5, 31
	s_delay_alu instid0(SALU_CYCLE_1) | instskip(SKIP_2) | instid1(SALU_CYCLE_1)
	s_add_u32 s10, s4, s8
	s_mov_b32 s9, s8
	s_addc_u32 s11, s5, s8
	s_xor_b64 s[8:9], s[10:11], s[8:9]
	s_delay_alu instid0(SALU_CYCLE_1) | instskip(SKIP_3) | instid1(VALU_DEP_1)
	v_cvt_f32_u32_e32 v3, s8
	v_cvt_f32_u32_e32 v4, s9
	s_sub_u32 s7, 0, s8
	s_subb_u32 s10, 0, s9
	v_fmamk_f32 v3, v4, 0x4f800000, v3
	s_delay_alu instid0(VALU_DEP_1) | instskip(SKIP_2) | instid1(VALU_DEP_1)
	v_rcp_f32_e32 v3, v3
	s_waitcnt_depctr 0xfff
	v_mul_f32_e32 v3, 0x5f7ffffc, v3
	v_mul_f32_e32 v4, 0x2f800000, v3
	s_delay_alu instid0(VALU_DEP_1) | instskip(NEXT) | instid1(VALU_DEP_1)
	v_trunc_f32_e32 v4, v4
	v_fmamk_f32 v3, v4, 0xcf800000, v3
	v_cvt_u32_f32_e32 v4, v4
	s_delay_alu instid0(VALU_DEP_2) | instskip(NEXT) | instid1(VALU_DEP_2)
	v_cvt_u32_f32_e32 v3, v3
	v_readfirstlane_b32 s3, v4
	s_delay_alu instid0(VALU_DEP_2) | instskip(NEXT) | instid1(VALU_DEP_2)
	v_readfirstlane_b32 s5, v3
	s_mul_i32 s11, s7, s3
	s_delay_alu instid0(VALU_DEP_1)
	s_mul_hi_u32 s24, s7, s5
	s_mul_i32 s12, s10, s5
	s_add_i32 s11, s24, s11
	s_mul_i32 s25, s7, s5
	s_add_i32 s11, s11, s12
	s_mul_hi_u32 s24, s5, s25
	s_mul_hi_u32 s26, s3, s25
	s_mul_i32 s12, s3, s25
	s_mul_hi_u32 s25, s5, s11
	s_mul_i32 s5, s5, s11
	s_mul_hi_u32 s27, s3, s11
	s_add_u32 s5, s24, s5
	s_addc_u32 s24, 0, s25
	s_add_u32 s5, s5, s12
	s_mul_i32 s11, s3, s11
	s_addc_u32 s5, s24, s26
	s_addc_u32 s12, s27, 0
	s_add_u32 s5, s5, s11
	s_addc_u32 s11, 0, s12
	v_add_co_u32 v3, s5, v3, s5
	s_delay_alu instid0(VALU_DEP_1) | instskip(SKIP_1) | instid1(VALU_DEP_1)
	s_cmp_lg_u32 s5, 0
	s_addc_u32 s3, s3, s11
	v_readfirstlane_b32 s5, v3
	s_mul_i32 s11, s7, s3
	s_delay_alu instid0(VALU_DEP_1)
	s_mul_hi_u32 s12, s7, s5
	s_mul_i32 s10, s10, s5
	s_add_i32 s11, s12, s11
	s_mul_i32 s7, s7, s5
	s_add_i32 s11, s11, s10
	s_mul_hi_u32 s12, s3, s7
	s_mul_i32 s24, s3, s7
	s_mul_hi_u32 s7, s5, s7
	s_mul_hi_u32 s25, s5, s11
	s_mul_i32 s5, s5, s11
	s_mul_hi_u32 s10, s3, s11
	s_add_u32 s5, s7, s5
	s_addc_u32 s7, 0, s25
	s_add_u32 s5, s5, s24
	s_mul_i32 s11, s3, s11
	s_addc_u32 s5, s7, s12
	s_addc_u32 s7, s10, 0
	s_add_u32 s5, s5, s11
	s_addc_u32 s7, 0, s7
	v_add_co_u32 v3, s5, v3, s5
	s_delay_alu instid0(VALU_DEP_1) | instskip(SKIP_1) | instid1(VALU_DEP_1)
	s_cmp_lg_u32 s5, 0
	s_addc_u32 s3, s3, s7
	v_readfirstlane_b32 s5, v3
	s_mul_i32 s7, s2, s3
	s_mul_hi_u32 s3, s2, s3
	s_delay_alu instid0(VALU_DEP_1) | instskip(NEXT) | instid1(SALU_CYCLE_1)
	s_mul_hi_u32 s5, s2, s5
	s_add_u32 s5, s5, s7
	s_addc_u32 s3, 0, s3
	s_add_u32 s5, s5, 0
	s_addc_u32 s3, s3, 0
	s_addc_u32 s5, 0, 0
	s_add_u32 s3, s3, 0
	s_addc_u32 s5, 0, s5
	s_mul_hi_u32 s7, s8, s3
	s_mul_i32 s5, s8, s5
	s_mul_i32 s10, s9, s3
	;; [unrolled: 1-line block ×3, first 2 shown]
	s_add_i32 s5, s7, s5
	v_sub_co_u32 v3, s3, s2, s3
	s_add_i32 s5, s5, s10
	s_delay_alu instid0(SALU_CYCLE_1) | instskip(SKIP_1) | instid1(VALU_DEP_1)
	s_sub_i32 s7, 0, s5
	s_cmp_lg_u32 s3, 0
	v_sub_co_u32 v4, s10, v3, s8
	s_subb_u32 s7, s7, s9
	s_cmp_lg_u32 s10, 0
	s_subb_u32 s11, s7, 0
	s_delay_alu instid0(VALU_DEP_1)
	v_cmp_le_u32_e32 vcc_lo, s8, v4
	s_cmp_ge_u32 s11, s9
	s_cselect_b32 s12, -1, 0
	s_cmp_eq_u32 s11, s9
	v_cndmask_b32_e64 v5, 0, -1, vcc_lo
	s_cselect_b32 vcc_lo, -1, 0
	s_cmp_lg_u32 s10, 0
	v_sub_co_u32 v6, s10, v4, s8
	s_subb_u32 s7, s7, s9
	s_cmp_lg_u32 s10, 0
	v_cndmask_b32_e32 v5, s12, v5, vcc_lo
	s_subb_u32 s7, s7, 0
	s_cmp_lg_u32 s3, 0
	v_cmp_le_u32_e32 vcc_lo, s8, v3
	s_subb_u32 s5, 0, s5
	s_delay_alu instid0(SALU_CYCLE_1)
	s_cmp_ge_u32 s5, s9
	v_cndmask_b32_e64 v7, 0, -1, vcc_lo
	s_cselect_b32 s8, -1, 0
	s_cmp_eq_u32 s5, s9
	v_cmp_ne_u32_e32 vcc_lo, 0, v5
	v_mov_b32_e32 v5, s7
	s_cselect_b32 s3, -1, 0
	s_delay_alu instid0(SALU_CYCLE_1) | instskip(SKIP_1) | instid1(VALU_DEP_3)
	v_cndmask_b32_e64 v7, s8, v7, s3
	v_cndmask_b32_e32 v4, v4, v6, vcc_lo
	v_cndmask_b32_e32 v5, s11, v5, vcc_lo
	s_delay_alu instid0(VALU_DEP_3) | instskip(NEXT) | instid1(VALU_DEP_3)
	v_cmp_ne_u32_e32 vcc_lo, 0, v7
	v_cndmask_b32_e32 v3, v3, v4, vcc_lo
	s_delay_alu instid0(VALU_DEP_3) | instskip(NEXT) | instid1(VALU_DEP_2)
	v_cndmask_b32_e32 v5, s5, v5, vcc_lo
	v_sub_co_u32 v3, vcc_lo, v3, 0
	s_delay_alu instid0(VALU_DEP_2)
	v_subrev_co_ci_u32_e32 v4, vcc_lo, 0, v5, vcc_lo
	s_and_not1_b32 vcc_lo, exec_lo, s6
	s_cbranch_vccnz .LBB18_6
.LBB18_5:
	v_cvt_f32_u32_e32 v3, s4
	s_sub_i32 s5, 0, s4
	s_delay_alu instid0(VALU_DEP_1) | instskip(SKIP_2) | instid1(VALU_DEP_1)
	v_rcp_iflag_f32_e32 v3, v3
	s_waitcnt_depctr 0xfff
	v_mul_f32_e32 v3, 0x4f7ffffe, v3
	v_cvt_u32_f32_e32 v3, v3
	s_delay_alu instid0(VALU_DEP_1) | instskip(NEXT) | instid1(VALU_DEP_1)
	v_readfirstlane_b32 s3, v3
	s_mul_i32 s5, s5, s3
	s_delay_alu instid0(SALU_CYCLE_1) | instskip(NEXT) | instid1(SALU_CYCLE_1)
	s_mul_hi_u32 s5, s3, s5
	s_add_i32 s3, s3, s5
	s_delay_alu instid0(SALU_CYCLE_1) | instskip(NEXT) | instid1(SALU_CYCLE_1)
	s_mul_hi_u32 s3, s2, s3
	s_mul_i32 s3, s3, s4
	s_delay_alu instid0(SALU_CYCLE_1) | instskip(NEXT) | instid1(SALU_CYCLE_1)
	s_sub_i32 s3, s2, s3
	s_sub_i32 s5, s3, s4
	s_cmp_ge_u32 s3, s4
	s_cselect_b32 s3, s5, s3
	s_mov_b32 s5, 0
	s_sub_i32 s6, s3, s4
	s_cmp_ge_u32 s3, s4
	s_cselect_b32 s4, s6, s3
	s_delay_alu instid0(SALU_CYCLE_1)
	v_dual_mov_b32 v3, s4 :: v_dual_mov_b32 v4, s5
.LBB18_6:
	s_load_b64 s[24:25], s[0:1], 0xa0
	s_waitcnt lgkmcnt(0)
	v_cmp_le_f32_e64 s3, s23, 0
	v_mov_b32_e32 v6, 1.0
	s_delay_alu instid0(VALU_DEP_2)
	s_and_b32 vcc_lo, exec_lo, s3
	s_cbranch_vccnz .LBB18_8
; %bb.7:
	s_clause 0x1
	s_load_b32 s3, s[0:1], 0x28
	s_load_b64 s[4:5], s[0:1], 0x98
	s_add_i32 s7, s14, 1
	s_waitcnt lgkmcnt(0)
	s_sub_i32 s6, s14, s3
	v_mov_b32_e32 v5, s4
	s_lshl_b32 s6, s6, 1
	s_delay_alu instid0(SALU_CYCLE_1)
	s_or_b32 s4, s6, 1
	s_cmp_lt_u32 s14, s3
	s_cselect_b32 vcc_lo, -1, 0
	v_cndmask_b32_e32 v7, s5, v5, vcc_lo
	s_and_b32 s3, vcc_lo, exec_lo
	s_cselect_b32 s3, s7, s4
	s_mov_b32 s4, 0x3e76c4e1
	v_cvt_f32_i32_e32 v5, s3
	v_cmp_neq_f32_e32 vcc_lo, 1.0, v7
	s_delay_alu instid0(VALU_DEP_2) | instskip(NEXT) | instid1(VALU_DEP_1)
	v_cndmask_b32_e32 v8, 1.0, v5, vcc_lo
	v_cmp_eq_f32_e32 vcc_lo, 0, v8
	v_cndmask_b32_e64 v9, |v7|, 1.0, vcc_lo
	s_delay_alu instid0(VALU_DEP_1) | instskip(NEXT) | instid1(VALU_DEP_1)
	v_frexp_mant_f32_e32 v5, v9
	v_cmp_gt_f32_e64 s3, 0x3f2aaaab, v5
	s_delay_alu instid0(VALU_DEP_1) | instskip(NEXT) | instid1(VALU_DEP_1)
	v_cndmask_b32_e64 v6, 1.0, 2.0, s3
	v_mul_f32_e32 v5, v5, v6
	s_delay_alu instid0(VALU_DEP_1) | instskip(SKIP_1) | instid1(VALU_DEP_2)
	v_add_f32_e32 v6, 1.0, v5
	v_add_f32_e32 v11, -1.0, v5
	v_rcp_f32_e32 v10, v6
	s_waitcnt_depctr 0xfff
	v_mul_f32_e32 v12, v11, v10
	s_delay_alu instid0(VALU_DEP_1) | instskip(NEXT) | instid1(VALU_DEP_1)
	v_dual_add_f32 v13, -1.0, v6 :: v_dual_mul_f32 v14, v6, v12
	v_sub_f32_e32 v5, v5, v13
	v_cndmask_b32_e64 v7, v7, 1.0, vcc_lo
	s_delay_alu instid0(VALU_DEP_3) | instskip(NEXT) | instid1(VALU_DEP_2)
	v_fma_f32 v6, v12, v6, -v14
	v_cmp_eq_f32_e64 s5, 0, v7
	s_delay_alu instid0(VALU_DEP_2) | instskip(NEXT) | instid1(VALU_DEP_1)
	v_fmac_f32_e32 v6, v12, v5
	v_add_f32_e32 v5, v14, v6
	s_delay_alu instid0(VALU_DEP_1) | instskip(NEXT) | instid1(VALU_DEP_1)
	v_dual_sub_f32 v14, v5, v14 :: v_dual_sub_f32 v13, v11, v5
	v_dual_sub_f32 v6, v14, v6 :: v_dual_sub_f32 v11, v11, v13
	s_delay_alu instid0(VALU_DEP_1) | instskip(NEXT) | instid1(VALU_DEP_1)
	v_sub_f32_e32 v5, v11, v5
	v_add_f32_e32 v5, v6, v5
	s_delay_alu instid0(VALU_DEP_1) | instskip(NEXT) | instid1(VALU_DEP_1)
	v_add_f32_e32 v5, v13, v5
	v_mul_f32_e32 v5, v10, v5
	s_delay_alu instid0(VALU_DEP_1) | instskip(NEXT) | instid1(VALU_DEP_1)
	v_add_f32_e32 v10, v12, v5
	v_sub_f32_e32 v6, v10, v12
	v_mul_f32_e32 v11, v10, v10
	s_delay_alu instid0(VALU_DEP_2) | instskip(NEXT) | instid1(VALU_DEP_2)
	v_sub_f32_e32 v12, v5, v6
	v_fma_f32 v13, v10, v10, -v11
	s_delay_alu instid0(VALU_DEP_2) | instskip(NEXT) | instid1(VALU_DEP_1)
	v_add_f32_e32 v5, v12, v12
	v_fmac_f32_e32 v13, v10, v5
	v_cvt_f64_f32_e32 v[5:6], v9
	s_delay_alu instid0(VALU_DEP_2) | instskip(NEXT) | instid1(VALU_DEP_1)
	v_add_f32_e32 v14, v11, v13
	v_fmaak_f32 v15, s4, v14, 0x3e91f4c4
	v_sub_f32_e32 v11, v14, v11
	v_mul_f32_e32 v18, v10, v14
	s_delay_alu instid0(VALU_DEP_3) | instskip(NEXT) | instid1(VALU_DEP_3)
	v_fmaak_f32 v15, v14, v15, 0x3ecccdef
	v_sub_f32_e32 v11, v13, v11
	s_delay_alu instid0(VALU_DEP_2) | instskip(NEXT) | instid1(VALU_DEP_1)
	v_mul_f32_e32 v16, v14, v15
	v_fma_f32 v13, v14, v15, -v16
	s_delay_alu instid0(VALU_DEP_1) | instskip(NEXT) | instid1(VALU_DEP_1)
	v_fmac_f32_e32 v13, v11, v15
	v_add_f32_e32 v15, v16, v13
	v_frexp_exp_i32_f64_e32 v5, v[5:6]
	s_delay_alu instid0(VALU_DEP_2) | instskip(NEXT) | instid1(VALU_DEP_1)
	v_sub_f32_e32 v16, v15, v16
	v_sub_f32_e32 v6, v13, v16
	v_fma_f32 v16, v14, v10, -v18
	s_delay_alu instid0(VALU_DEP_2) | instskip(NEXT) | instid1(VALU_DEP_2)
	v_add_f32_e32 v6, 0x31739010, v6
	v_dual_add_f32 v17, 0x3f2aaaaa, v15 :: v_dual_fmac_f32 v16, v14, v12
	v_ldexp_f32 v12, v12, 1
	s_delay_alu instid0(VALU_DEP_2) | instskip(NEXT) | instid1(VALU_DEP_1)
	v_dual_add_f32 v13, 0xbf2aaaaa, v17 :: v_dual_fmac_f32 v16, v11, v10
	v_sub_f32_e32 v13, v15, v13
	s_delay_alu instid0(VALU_DEP_1) | instskip(NEXT) | instid1(VALU_DEP_3)
	v_add_f32_e32 v6, v6, v13
	v_add_f32_e32 v13, v18, v16
	s_delay_alu instid0(VALU_DEP_2) | instskip(NEXT) | instid1(VALU_DEP_1)
	v_add_f32_e32 v11, v17, v6
	v_sub_f32_e32 v14, v17, v11
	s_delay_alu instid0(VALU_DEP_3) | instskip(SKIP_2) | instid1(VALU_DEP_4)
	v_mul_f32_e32 v15, v13, v11
	v_sub_f32_e32 v17, v13, v18
	v_subrev_co_ci_u32_e64 v5, s3, 0, v5, s3
	v_add_f32_e32 v6, v6, v14
	s_delay_alu instid0(VALU_DEP_4) | instskip(NEXT) | instid1(VALU_DEP_4)
	v_fma_f32 v14, v13, v11, -v15
	v_sub_f32_e32 v16, v16, v17
	s_delay_alu instid0(VALU_DEP_4) | instskip(NEXT) | instid1(VALU_DEP_3)
	v_cvt_f32_i32_e32 v5, v5
	v_fmac_f32_e32 v14, v13, v6
	v_ldexp_f32 v6, v10, 1
	s_delay_alu instid0(VALU_DEP_2) | instskip(NEXT) | instid1(VALU_DEP_1)
	v_fmac_f32_e32 v14, v16, v11
	v_add_f32_e32 v10, v15, v14
	s_delay_alu instid0(VALU_DEP_1) | instskip(NEXT) | instid1(VALU_DEP_1)
	v_add_f32_e32 v11, v6, v10
	v_dual_sub_f32 v6, v11, v6 :: v_dual_sub_f32 v13, v10, v15
	s_delay_alu instid0(VALU_DEP_1) | instskip(NEXT) | instid1(VALU_DEP_2)
	v_sub_f32_e32 v6, v10, v6
	v_sub_f32_e32 v13, v14, v13
	s_delay_alu instid0(VALU_DEP_1) | instskip(NEXT) | instid1(VALU_DEP_1)
	v_add_f32_e32 v10, v12, v13
	v_dual_mul_f32 v15, 0x3f317218, v5 :: v_dual_add_f32 v6, v10, v6
	s_delay_alu instid0(VALU_DEP_1) | instskip(NEXT) | instid1(VALU_DEP_2)
	v_fma_f32 v14, 0x3f317218, v5, -v15
	v_add_f32_e32 v12, v11, v6
	s_delay_alu instid0(VALU_DEP_1) | instskip(NEXT) | instid1(VALU_DEP_1)
	v_sub_f32_e32 v11, v12, v11
	v_dual_fmamk_f32 v5, v5, 0xb102e308, v14 :: v_dual_sub_f32 v6, v6, v11
	s_delay_alu instid0(VALU_DEP_1) | instskip(NEXT) | instid1(VALU_DEP_1)
	v_add_f32_e32 v10, v15, v5
	v_add_f32_e32 v13, v10, v12
	s_delay_alu instid0(VALU_DEP_1) | instskip(NEXT) | instid1(VALU_DEP_1)
	v_dual_sub_f32 v15, v10, v15 :: v_dual_sub_f32 v14, v13, v10
	v_sub_f32_e32 v16, v13, v14
	s_delay_alu instid0(VALU_DEP_2) | instskip(NEXT) | instid1(VALU_DEP_2)
	v_sub_f32_e32 v5, v5, v15
	v_dual_sub_f32 v11, v12, v14 :: v_dual_sub_f32 v10, v10, v16
	s_delay_alu instid0(VALU_DEP_2) | instskip(NEXT) | instid1(VALU_DEP_2)
	v_add_f32_e32 v12, v5, v6
	v_add_f32_e32 v10, v11, v10
	s_delay_alu instid0(VALU_DEP_1) | instskip(NEXT) | instid1(VALU_DEP_1)
	v_add_f32_e32 v10, v12, v10
	v_dual_sub_f32 v11, v12, v5 :: v_dual_add_f32 v14, v13, v10
	s_delay_alu instid0(VALU_DEP_1) | instskip(SKIP_1) | instid1(VALU_DEP_3)
	v_sub_f32_e32 v12, v12, v11
	v_sub_f32_e32 v6, v6, v11
	;; [unrolled: 1-line block ×3, first 2 shown]
	s_delay_alu instid0(VALU_DEP_3) | instskip(NEXT) | instid1(VALU_DEP_1)
	v_sub_f32_e32 v5, v5, v12
	v_add_f32_e32 v5, v6, v5
	s_delay_alu instid0(VALU_DEP_3) | instskip(NEXT) | instid1(VALU_DEP_1)
	v_sub_f32_e32 v6, v10, v11
	v_add_f32_e32 v5, v5, v6
	s_delay_alu instid0(VALU_DEP_1) | instskip(NEXT) | instid1(VALU_DEP_1)
	v_add_f32_e32 v6, v14, v5
	v_mul_f32_e32 v11, v8, v6
	v_sub_f32_e32 v10, v6, v14
	s_delay_alu instid0(VALU_DEP_2) | instskip(NEXT) | instid1(VALU_DEP_2)
	v_fma_f32 v6, v8, v6, -v11
	v_sub_f32_e32 v5, v5, v10
	v_cmp_class_f32_e64 s3, v11, 0x204
	s_delay_alu instid0(VALU_DEP_2) | instskip(NEXT) | instid1(VALU_DEP_1)
	v_fmac_f32_e32 v6, v8, v5
	v_add_f32_e32 v5, v11, v6
	s_delay_alu instid0(VALU_DEP_1) | instskip(NEXT) | instid1(VALU_DEP_1)
	v_cndmask_b32_e64 v10, v5, v11, s3
	v_cmp_eq_f32_e64 s3, 0x42b17218, v10
	s_delay_alu instid0(VALU_DEP_1) | instskip(SKIP_1) | instid1(VALU_DEP_2)
	v_cndmask_b32_e64 v12, 0, 0x37000000, s3
	v_cmp_neq_f32_e64 s3, 0x7f800000, |v10|
	v_sub_f32_e32 v13, v10, v12
	v_trunc_f32_e32 v10, v8
	s_delay_alu instid0(VALU_DEP_2) | instskip(NEXT) | instid1(VALU_DEP_1)
	v_mul_f32_e32 v14, 0x3fb8aa3b, v13
	v_fma_f32 v15, 0x3fb8aa3b, v13, -v14
	v_rndne_f32_e32 v16, v14
	s_delay_alu instid0(VALU_DEP_1) | instskip(NEXT) | instid1(VALU_DEP_1)
	v_dual_fmamk_f32 v15, v13, 0x32a5705f, v15 :: v_dual_sub_f32 v14, v14, v16
	v_add_f32_e32 v14, v14, v15
	v_sub_f32_e32 v5, v5, v11
	v_cvt_i32_f32_e32 v11, v16
	s_delay_alu instid0(VALU_DEP_3) | instskip(NEXT) | instid1(VALU_DEP_2)
	v_exp_f32_e32 v14, v14
	v_sub_f32_e32 v5, v6, v5
	s_delay_alu instid0(VALU_DEP_1)
	v_cndmask_b32_e64 v5, 0, v5, s3
	v_cmp_ngt_f32_e64 s3, 0xc2ce8ed0, v13
	s_waitcnt_depctr 0xfff
	v_ldexp_f32 v6, v14, v11
	v_mul_f32_e32 v11, 0.5, v8
	v_add_f32_e32 v5, v12, v5
	s_delay_alu instid0(VALU_DEP_3) | instskip(NEXT) | instid1(VALU_DEP_3)
	v_cndmask_b32_e64 v6, 0, v6, s3
	v_trunc_f32_e32 v14, v11
	v_cmp_nlt_f32_e64 s3, 0x42b17218, v13
	s_delay_alu instid0(VALU_DEP_2) | instskip(NEXT) | instid1(VALU_DEP_2)
	v_cmp_neq_f32_e64 s4, v14, v11
	v_cndmask_b32_e64 v6, 0x7f800000, v6, s3
	v_cmp_eq_f32_e64 s3, v10, v8
	s_delay_alu instid0(VALU_DEP_2) | instskip(NEXT) | instid1(VALU_DEP_2)
	v_fma_f32 v5, v6, v5, v6
	s_and_b32 vcc_lo, s3, s4
	v_cmp_class_f32_e64 s4, v6, 0x204
	v_cndmask_b32_e32 v10, 1.0, v7, vcc_lo
	s_delay_alu instid0(VALU_DEP_2) | instskip(SKIP_1) | instid1(VALU_DEP_2)
	v_cndmask_b32_e64 v5, v5, v6, s4
	v_cmp_gt_f32_e64 s4, 0, v8
	v_bfi_b32 v5, 0x7fffffff, v5, v10
	s_delay_alu instid0(VALU_DEP_2)
	s_xor_b32 s4, s4, s5
	v_cndmask_b32_e32 v10, 0, v7, vcc_lo
	v_cndmask_b32_e64 v6, 0x7f800000, 0, s4
	v_cmp_eq_f32_e32 vcc_lo, 0x7f800000, v9
	v_cndmask_b32_e64 v8, 0x7fc00000, v5, s3
	v_cmp_gt_f32_e64 s3, 0, v7
	s_delay_alu instid0(VALU_DEP_4) | instskip(SKIP_1) | instid1(VALU_DEP_2)
	v_bfi_b32 v6, 0x7fffffff, v6, v10
	s_or_b32 vcc_lo, vcc_lo, s5
	v_cndmask_b32_e64 v5, v5, v8, s3
	s_delay_alu instid0(VALU_DEP_1) | instskip(SKIP_1) | instid1(VALU_DEP_2)
	v_cndmask_b32_e32 v5, v5, v6, vcc_lo
	v_cmp_o_f32_e32 vcc_lo, v7, v7
	v_cndmask_b32_e32 v6, 0x7fc00000, v5, vcc_lo
.LBB18_8:
	s_load_b256 s[4:11], s[0:1], 0x0
	s_waitcnt lgkmcnt(0)
	s_cmp_lg_u64 s[8:9], 0
	s_cselect_b32 s12, -1, 0
	s_cmp_eq_u64 s[8:9], 0
	s_cbranch_scc1 .LBB18_12
; %bb.9:
	s_lshl_b64 s[0:1], s[14:15], 2
	s_delay_alu instid0(SALU_CYCLE_1)
	s_add_u32 s0, s8, s0
	s_addc_u32 s1, s9, s1
	s_load_b32 s0, s[0:1], 0x0
	s_branch .LBB18_13
.LBB18_10:
                                        ; implicit-def: $vgpr1_vgpr2
	s_branch .LBB18_2
.LBB18_11:
                                        ; implicit-def: $vgpr3_vgpr4
	s_branch .LBB18_5
.LBB18_12:
	s_mov_b32 s0, 0xff800000
.LBB18_13:
	s_mul_i32 s1, s25, s2
	v_dual_mov_b32 v8, 0 :: v_dual_lshlrev_b32 v5, 2, v0
	s_add_i32 s1, s1, s14
	s_delay_alu instid0(SALU_CYCLE_1) | instskip(NEXT) | instid1(SALU_CYCLE_1)
	s_mul_i32 s1, s1, s24
	s_add_i32 s2, s1, s13
	s_delay_alu instid0(SALU_CYCLE_1) | instskip(NEXT) | instid1(SALU_CYCLE_1)
	s_ashr_i32 s3, s2, 31
	s_lshl_b64 s[24:25], s[2:3], 10
	s_delay_alu instid0(SALU_CYCLE_1)
	s_add_u32 s4, s4, s24
	s_addc_u32 s5, s5, s25
	s_cmp_eq_u64 s[6:7], 0
	global_load_b32 v7, v5, s[4:5]
	s_cselect_b32 s1, -1, 0
	s_cmp_lg_u64 s[6:7], 0
	s_cbranch_scc0 .LBB18_15
; %bb.14:
	v_mul_lo_u32 v8, v1, s19
	v_mul_hi_u32 v9, v1, s18
	v_mul_lo_u32 v10, v3, s21
	v_mul_hi_u32 v11, v3, s20
	v_mul_lo_u32 v2, v2, s18
	v_mul_lo_u32 v1, v1, s18
	;; [unrolled: 1-line block ×4, first 2 shown]
	s_mul_i32 s4, s17, s13
	v_add_nc_u32_e32 v8, v9, v8
	s_mul_hi_u32 s5, s16, s13
	v_add_nc_u32_e32 v9, v11, v10
	s_mul_i32 s13, s16, s13
	s_add_i32 s5, s5, s4
	v_add_nc_u32_e32 v2, v8, v2
	v_add_co_u32 v1, vcc_lo, v1, s13
	v_add_nc_u32_e32 v4, v9, v4
	s_delay_alu instid0(VALU_DEP_3) | instskip(NEXT) | instid1(VALU_DEP_3)
	v_add_co_ci_u32_e32 v2, vcc_lo, s5, v2, vcc_lo
	v_add_co_u32 v1, vcc_lo, v1, v3
	s_delay_alu instid0(VALU_DEP_2) | instskip(NEXT) | instid1(VALU_DEP_1)
	v_add_co_ci_u32_e32 v2, vcc_lo, v2, v4, vcc_lo
	v_lshrrev_b64 v[1:2], 2, v[1:2]
	s_delay_alu instid0(VALU_DEP_1) | instskip(NEXT) | instid1(VALU_DEP_2)
	v_cndmask_b32_e64 v2, v2, 0, s1
	v_cndmask_b32_e64 v1, v1, 0, s1
	s_delay_alu instid0(VALU_DEP_1) | instskip(NEXT) | instid1(VALU_DEP_1)
	v_lshlrev_b64 v[1:2], 2, v[1:2]
	v_add_co_u32 v1, vcc_lo, s6, v1
	s_delay_alu instid0(VALU_DEP_2) | instskip(NEXT) | instid1(VALU_DEP_2)
	v_add_co_ci_u32_e32 v2, vcc_lo, s7, v2, vcc_lo
	v_readfirstlane_b32 s4, v1
	s_delay_alu instid0(VALU_DEP_2)
	v_readfirstlane_b32 s5, v2
	global_load_b32 v1, v5, s[4:5]
	s_waitcnt vmcnt(0)
	v_mul_f32_e32 v8, v6, v1
.LBB18_15:
	v_mbcnt_lo_u32_b32 v1, -1, 0
	s_waitcnt lgkmcnt(0)
	v_max_f32_e64 v3, s0, s0
	s_delay_alu instid0(VALU_DEP_2) | instskip(SKIP_1) | instid1(VALU_DEP_2)
	v_xor_b32_e32 v2, 16, v1
	v_xor_b32_e32 v6, 8, v1
	v_cmp_gt_i32_e32 vcc_lo, 32, v2
	v_cndmask_b32_e32 v2, v1, v2, vcc_lo
	s_delay_alu instid0(VALU_DEP_3) | instskip(NEXT) | instid1(VALU_DEP_2)
	v_cmp_gt_i32_e32 vcc_lo, 32, v6
	v_lshlrev_b32_e32 v2, 2, v2
	v_cndmask_b32_e32 v6, v1, v6, vcc_lo
	s_waitcnt vmcnt(0)
	v_fmac_f32_e32 v8, s22, v7
	s_delay_alu instid0(VALU_DEP_1) | instskip(SKIP_3) | instid1(VALU_DEP_1)
	v_max_f32_e32 v4, v3, v8
	ds_bpermute_b32 v3, v2, v4
	s_waitcnt lgkmcnt(0)
	v_max_f32_e32 v7, v3, v3
	v_dual_max_f32 v6, v4, v7 :: v_dual_lshlrev_b32 v3, 2, v6
	v_xor_b32_e32 v7, 4, v1
	ds_bpermute_b32 v4, v3, v6
	v_cmp_gt_i32_e32 vcc_lo, 32, v7
	v_cndmask_b32_e32 v7, v1, v7, vcc_lo
	s_waitcnt lgkmcnt(0)
	s_delay_alu instid0(VALU_DEP_1) | instskip(NEXT) | instid1(VALU_DEP_1)
	v_dual_max_f32 v9, v4, v4 :: v_dual_lshlrev_b32 v4, 2, v7
	v_max_f32_e32 v7, v6, v9
	v_xor_b32_e32 v9, 2, v1
	ds_bpermute_b32 v6, v4, v7
	v_cmp_gt_i32_e32 vcc_lo, 32, v9
	s_waitcnt lgkmcnt(0)
	v_dual_cndmask_b32 v9, v1, v9 :: v_dual_max_f32 v10, v6, v6
	s_delay_alu instid0(VALU_DEP_1)
	v_dual_max_f32 v7, v7, v10 :: v_dual_lshlrev_b32 v6, 2, v9
	v_xor_b32_e32 v10, 1, v1
	ds_bpermute_b32 v9, v6, v7
	v_cmp_gt_i32_e32 vcc_lo, 32, v10
	s_waitcnt lgkmcnt(0)
	v_max_f32_e32 v9, v9, v9
	s_delay_alu instid0(VALU_DEP_1) | instskip(NEXT) | instid1(VALU_DEP_1)
	v_dual_cndmask_b32 v1, v1, v10 :: v_dual_max_f32 v10, v7, v9
	v_lshlrev_b32_e32 v7, 2, v1
	v_and_b32_e32 v9, 31, v0
	v_lshl_add_u32 v1, v0, 2, 0
	v_lshrrev_b32_e32 v0, 3, v0
	ds_bpermute_b32 v11, v7, v10
	v_cmp_eq_u32_e32 vcc_lo, 0, v9
	ds_store_b32 v1, v8 offset:128
	s_and_saveexec_b32 s0, vcc_lo
	s_delay_alu instid0(SALU_CYCLE_1)
	s_xor_b32 s0, exec_lo, s0
	s_cbranch_execz .LBB18_17
; %bb.16:
	s_waitcnt lgkmcnt(1)
	v_max_f32_e32 v8, v11, v11
	v_max_f32_e32 v10, v10, v10
	s_delay_alu instid0(VALU_DEP_1)
	v_max_f32_e32 v8, v10, v8
	v_add_nc_u32_e32 v10, 0, v0
	ds_store_b32 v10, v8
.LBB18_17:
	s_or_b32 exec_lo, exec_lo, s0
	v_cmp_gt_u32_e64 s0, 8, v9
	v_mov_b32_e32 v10, 0xff800000
	v_lshl_add_u32 v8, v9, 2, 0
	s_waitcnt lgkmcnt(0)
	s_barrier
	buffer_gl0_inv
	s_and_saveexec_b32 s1, s0
	s_cbranch_execz .LBB18_19
; %bb.18:
	ds_load_b32 v10, v8
.LBB18_19:
	s_or_b32 exec_lo, exec_lo, s1
	s_waitcnt lgkmcnt(0)
	ds_bpermute_b32 v9, v2, v10
	v_max_f32_e32 v10, v10, v10
	ds_load_b32 v11, v1 offset:128
	s_waitcnt lgkmcnt(1)
	v_max_f32_e32 v9, v9, v9
	s_delay_alu instid0(VALU_DEP_1) | instskip(SKIP_3) | instid1(VALU_DEP_1)
	v_max_f32_e32 v9, v10, v9
	ds_bpermute_b32 v10, v3, v9
	s_waitcnt lgkmcnt(0)
	v_max_f32_e32 v10, v10, v10
	v_max_f32_e32 v9, v9, v10
	ds_bpermute_b32 v10, v4, v9
	s_waitcnt lgkmcnt(0)
	v_max_f32_e32 v10, v10, v10
	s_delay_alu instid0(VALU_DEP_1) | instskip(SKIP_3) | instid1(VALU_DEP_1)
	v_max_f32_e32 v9, v9, v10
	ds_bpermute_b32 v10, v6, v9
	s_waitcnt lgkmcnt(0)
	v_max_f32_e32 v10, v10, v10
	v_max_f32_e32 v9, v9, v10
	ds_bpermute_b32 v10, v7, v9
	s_waitcnt lgkmcnt(0)
	v_max_f32_e32 v10, v10, v10
	s_delay_alu instid0(VALU_DEP_1) | instskip(NEXT) | instid1(VALU_DEP_1)
	v_max_f32_e32 v9, v9, v10
	v_sub_f32_e32 v10, v11, v9
	s_delay_alu instid0(VALU_DEP_1) | instskip(SKIP_1) | instid1(VALU_DEP_2)
	v_mul_f32_e32 v11, 0x3fb8aa3b, v10
	v_cmp_ngt_f32_e64 s1, 0xc2ce8ed0, v10
	v_fma_f32 v12, 0x3fb8aa3b, v10, -v11
	v_rndne_f32_e32 v13, v11
	s_delay_alu instid0(VALU_DEP_1) | instskip(NEXT) | instid1(VALU_DEP_1)
	v_dual_fmamk_f32 v12, v10, 0x32a5705f, v12 :: v_dual_sub_f32 v11, v11, v13
	v_add_f32_e32 v11, v11, v12
	v_cvt_i32_f32_e32 v12, v13
	s_delay_alu instid0(VALU_DEP_2) | instskip(SKIP_2) | instid1(VALU_DEP_1)
	v_exp_f32_e32 v11, v11
	s_waitcnt_depctr 0xfff
	v_ldexp_f32 v11, v11, v12
	v_cndmask_b32_e64 v11, 0, v11, s1
	v_cmp_nlt_f32_e64 s1, 0x42b17218, v10
	s_delay_alu instid0(VALU_DEP_1)
	v_cndmask_b32_e64 v12, 0x7f800000, v11, s1
	ds_bpermute_b32 v10, v2, v12
	ds_store_b32 v1, v12 offset:128
	s_waitcnt lgkmcnt(1)
	v_add_f32_e32 v10, v12, v10
	ds_bpermute_b32 v11, v3, v10
	s_waitcnt lgkmcnt(0)
	v_add_f32_e32 v10, v10, v11
	ds_bpermute_b32 v11, v4, v10
	s_waitcnt lgkmcnt(0)
	v_add_f32_e32 v10, v10, v11
	ds_bpermute_b32 v11, v6, v10
	s_waitcnt lgkmcnt(0)
	v_add_f32_e32 v10, v10, v11
	ds_bpermute_b32 v11, v7, v10
	s_and_saveexec_b32 s1, vcc_lo
	s_cbranch_execz .LBB18_21
; %bb.20:
	s_waitcnt lgkmcnt(0)
	v_add_f32_e32 v10, v10, v11
	v_add_nc_u32_e32 v0, 0, v0
	ds_store_b32 v0, v10
.LBB18_21:
	s_or_b32 exec_lo, exec_lo, s1
	v_mov_b32_e32 v0, 0
	s_waitcnt lgkmcnt(0)
	s_barrier
	buffer_gl0_inv
	s_and_saveexec_b32 s1, s0
	s_cbranch_execz .LBB18_23
; %bb.22:
	ds_load_b32 v0, v8
.LBB18_23:
	s_or_b32 exec_lo, exec_lo, s1
	s_waitcnt lgkmcnt(0)
	ds_bpermute_b32 v2, v2, v0
	s_and_not1_b32 vcc_lo, exec_lo, s12
	s_lshl_b64 s[0:1], s[2:3], 8
	s_waitcnt lgkmcnt(0)
	v_add_f32_e32 v0, v0, v2
	ds_bpermute_b32 v2, v3, v0
	s_waitcnt lgkmcnt(0)
	v_add_f32_e32 v0, v0, v2
	ds_bpermute_b32 v2, v4, v0
	;; [unrolled: 3-line block ×4, first 2 shown]
	s_waitcnt lgkmcnt(0)
	v_add_f32_e32 v0, v0, v2
	s_cbranch_vccnz .LBB18_25
; %bb.24:
	s_lshl_b64 s[2:3], s[14:15], 2
	s_delay_alu instid0(SALU_CYCLE_1) | instskip(SKIP_4) | instid1(VALU_DEP_1)
	s_add_u32 s2, s8, s2
	s_addc_u32 s3, s9, s3
	s_load_b32 s2, s[2:3], 0x0
	s_waitcnt lgkmcnt(0)
	v_sub_f32_e32 v2, s2, v9
	v_mul_f32_e32 v3, 0x3fb8aa3b, v2
	s_delay_alu instid0(VALU_DEP_1) | instskip(SKIP_1) | instid1(VALU_DEP_1)
	v_fma_f32 v4, 0x3fb8aa3b, v2, -v3
	v_rndne_f32_e32 v6, v3
	v_sub_f32_e32 v3, v3, v6
	v_cmp_ngt_f32_e32 vcc_lo, 0xc2ce8ed0, v2
	s_delay_alu instid0(VALU_DEP_4) | instskip(NEXT) | instid1(VALU_DEP_1)
	v_fmamk_f32 v4, v2, 0x32a5705f, v4
	v_add_f32_e32 v3, v3, v4
	v_cvt_i32_f32_e32 v4, v6
	s_delay_alu instid0(VALU_DEP_2) | instskip(SKIP_2) | instid1(VALU_DEP_1)
	v_exp_f32_e32 v3, v3
	s_waitcnt_depctr 0xfff
	v_ldexp_f32 v3, v3, v4
	v_cndmask_b32_e32 v3, 0, v3, vcc_lo
	v_cmp_nlt_f32_e32 vcc_lo, 0x42b17218, v2
	s_delay_alu instid0(VALU_DEP_2) | instskip(NEXT) | instid1(VALU_DEP_1)
	v_cndmask_b32_e32 v2, 0x7f800000, v3, vcc_lo
	v_add_f32_e32 v0, v0, v2
.LBB18_25:
	s_delay_alu instid0(VALU_DEP_1) | instskip(SKIP_4) | instid1(SALU_CYCLE_1)
	v_div_scale_f32 v2, null, v0, v0, 1.0
	v_div_scale_f32 v6, vcc_lo, 1.0, v0, 1.0
	ds_load_b32 v1, v1 offset:128
	v_rcp_f32_e32 v3, v2
	s_lshl_b64 s[0:1], s[0:1], 2
	s_add_u32 s0, s10, s0
	s_addc_u32 s1, s11, s1
	s_waitcnt_depctr 0xfff
	v_fma_f32 v4, -v2, v3, 1.0
	s_delay_alu instid0(VALU_DEP_1) | instskip(NEXT) | instid1(VALU_DEP_1)
	v_fmac_f32_e32 v3, v4, v3
	v_mul_f32_e32 v4, v6, v3
	s_delay_alu instid0(VALU_DEP_1) | instskip(NEXT) | instid1(VALU_DEP_1)
	v_fma_f32 v7, -v2, v4, v6
	v_fmac_f32_e32 v4, v7, v3
	s_delay_alu instid0(VALU_DEP_1) | instskip(NEXT) | instid1(VALU_DEP_1)
	v_fma_f32 v2, -v2, v4, v6
	v_div_fmas_f32 v2, v2, v3, v4
	s_delay_alu instid0(VALU_DEP_1) | instskip(SKIP_1) | instid1(VALU_DEP_1)
	v_div_fixup_f32 v0, v2, v0, 1.0
	s_waitcnt lgkmcnt(0)
	v_mul_f32_e32 v0, v1, v0
	global_store_b32 v5, v0, s[0:1]
	s_nop 0
	s_sendmsg sendmsg(MSG_DEALLOC_VGPRS)
	s_endpgm
	.section	.rodata,"a",@progbits
	.p2align	6, 0x0
	.amdhsa_kernel _ZL12soft_max_f32ILb1ELi256ELi256EfEvPKfPKT2_S1_Pf15soft_max_params
		.amdhsa_group_segment_fixed_size 0
		.amdhsa_private_segment_fixed_size 0
		.amdhsa_kernarg_size 416
		.amdhsa_user_sgpr_count 13
		.amdhsa_user_sgpr_dispatch_ptr 0
		.amdhsa_user_sgpr_queue_ptr 0
		.amdhsa_user_sgpr_kernarg_segment_ptr 1
		.amdhsa_user_sgpr_dispatch_id 0
		.amdhsa_user_sgpr_private_segment_size 0
		.amdhsa_wavefront_size32 1
		.amdhsa_uses_dynamic_stack 0
		.amdhsa_enable_private_segment 0
		.amdhsa_system_sgpr_workgroup_id_x 1
		.amdhsa_system_sgpr_workgroup_id_y 1
		.amdhsa_system_sgpr_workgroup_id_z 1
		.amdhsa_system_sgpr_workgroup_info 0
		.amdhsa_system_vgpr_workitem_id 0
		.amdhsa_next_free_vgpr 19
		.amdhsa_next_free_sgpr 28
		.amdhsa_reserve_vcc 1
		.amdhsa_float_round_mode_32 0
		.amdhsa_float_round_mode_16_64 0
		.amdhsa_float_denorm_mode_32 3
		.amdhsa_float_denorm_mode_16_64 3
		.amdhsa_dx10_clamp 1
		.amdhsa_ieee_mode 1
		.amdhsa_fp16_overflow 0
		.amdhsa_workgroup_processor_mode 1
		.amdhsa_memory_ordered 1
		.amdhsa_forward_progress 0
		.amdhsa_shared_vgpr_count 0
		.amdhsa_exception_fp_ieee_invalid_op 0
		.amdhsa_exception_fp_denorm_src 0
		.amdhsa_exception_fp_ieee_div_zero 0
		.amdhsa_exception_fp_ieee_overflow 0
		.amdhsa_exception_fp_ieee_underflow 0
		.amdhsa_exception_fp_ieee_inexact 0
		.amdhsa_exception_int_div_zero 0
	.end_amdhsa_kernel
	.section	.text._ZL12soft_max_f32ILb1ELi256ELi256EfEvPKfPKT2_S1_Pf15soft_max_params,"axG",@progbits,_ZL12soft_max_f32ILb1ELi256ELi256EfEvPKfPKT2_S1_Pf15soft_max_params,comdat
.Lfunc_end18:
	.size	_ZL12soft_max_f32ILb1ELi256ELi256EfEvPKfPKT2_S1_Pf15soft_max_params, .Lfunc_end18-_ZL12soft_max_f32ILb1ELi256ELi256EfEvPKfPKT2_S1_Pf15soft_max_params
                                        ; -- End function
	.section	.AMDGPU.csdata,"",@progbits
; Kernel info:
; codeLenInByte = 4296
; NumSgprs: 30
; NumVgprs: 19
; ScratchSize: 0
; MemoryBound: 0
; FloatMode: 240
; IeeeMode: 1
; LDSByteSize: 0 bytes/workgroup (compile time only)
; SGPRBlocks: 3
; VGPRBlocks: 2
; NumSGPRsForWavesPerEU: 30
; NumVGPRsForWavesPerEU: 19
; Occupancy: 16
; WaveLimiterHint : 1
; COMPUTE_PGM_RSRC2:SCRATCH_EN: 0
; COMPUTE_PGM_RSRC2:USER_SGPR: 13
; COMPUTE_PGM_RSRC2:TRAP_HANDLER: 0
; COMPUTE_PGM_RSRC2:TGID_X_EN: 1
; COMPUTE_PGM_RSRC2:TGID_Y_EN: 1
; COMPUTE_PGM_RSRC2:TGID_Z_EN: 1
; COMPUTE_PGM_RSRC2:TIDIG_COMP_CNT: 0
	.section	.text._ZL12soft_max_f32ILb1ELi128ELi128EfEvPKfPKT2_S1_Pf15soft_max_params,"axG",@progbits,_ZL12soft_max_f32ILb1ELi128ELi128EfEvPKfPKT2_S1_Pf15soft_max_params,comdat
	.globl	_ZL12soft_max_f32ILb1ELi128ELi128EfEvPKfPKT2_S1_Pf15soft_max_params ; -- Begin function _ZL12soft_max_f32ILb1ELi128ELi128EfEvPKfPKT2_S1_Pf15soft_max_params
	.p2align	8
	.type	_ZL12soft_max_f32ILb1ELi128ELi128EfEvPKfPKT2_S1_Pf15soft_max_params,@function
_ZL12soft_max_f32ILb1ELi128ELi128EfEvPKfPKT2_S1_Pf15soft_max_params: ; @_ZL12soft_max_f32ILb1ELi128ELi128EfEvPKfPKT2_S1_Pf15soft_max_params
; %bb.0:
	s_clause 0x1
	s_load_b256 s[16:23], s[0:1], 0x68
	s_load_b64 s[4:5], s[0:1], 0x88
	s_mov_b32 s2, s15
	s_mov_b32 s15, 0
	s_delay_alu instid0(SALU_CYCLE_1) | instskip(SKIP_2) | instid1(SALU_CYCLE_1)
	s_mov_b32 s6, s15
	s_waitcnt lgkmcnt(0)
	s_mov_b32 s7, s23
	s_cmp_lg_u64 s[6:7], 0
	s_cbranch_scc0 .LBB19_10
; %bb.1:
	s_ashr_i32 s6, s23, 31
	s_delay_alu instid0(SALU_CYCLE_1) | instskip(SKIP_2) | instid1(SALU_CYCLE_1)
	s_add_u32 s8, s22, s6
	s_mov_b32 s7, s6
	s_addc_u32 s9, s23, s6
	s_xor_b64 s[6:7], s[8:9], s[6:7]
	s_delay_alu instid0(SALU_CYCLE_1) | instskip(SKIP_3) | instid1(VALU_DEP_1)
	v_cvt_f32_u32_e32 v1, s6
	v_cvt_f32_u32_e32 v2, s7
	s_sub_u32 s9, 0, s6
	s_subb_u32 s10, 0, s7
	v_fmamk_f32 v1, v2, 0x4f800000, v1
	s_delay_alu instid0(VALU_DEP_1) | instskip(SKIP_2) | instid1(VALU_DEP_1)
	v_rcp_f32_e32 v1, v1
	s_waitcnt_depctr 0xfff
	v_mul_f32_e32 v1, 0x5f7ffffc, v1
	v_mul_f32_e32 v2, 0x2f800000, v1
	s_delay_alu instid0(VALU_DEP_1) | instskip(NEXT) | instid1(VALU_DEP_1)
	v_trunc_f32_e32 v2, v2
	v_fmamk_f32 v1, v2, 0xcf800000, v1
	v_cvt_u32_f32_e32 v2, v2
	s_delay_alu instid0(VALU_DEP_2) | instskip(NEXT) | instid1(VALU_DEP_2)
	v_cvt_u32_f32_e32 v1, v1
	v_readfirstlane_b32 s3, v2
	s_delay_alu instid0(VALU_DEP_2) | instskip(NEXT) | instid1(VALU_DEP_2)
	v_readfirstlane_b32 s8, v1
	s_mul_i32 s11, s9, s3
	s_delay_alu instid0(VALU_DEP_1)
	s_mul_hi_u32 s23, s9, s8
	s_mul_i32 s12, s10, s8
	s_add_i32 s11, s23, s11
	s_mul_i32 s24, s9, s8
	s_add_i32 s11, s11, s12
	s_mul_hi_u32 s23, s8, s24
	s_mul_hi_u32 s25, s3, s24
	s_mul_i32 s12, s3, s24
	s_mul_hi_u32 s24, s8, s11
	s_mul_i32 s8, s8, s11
	s_mul_hi_u32 s26, s3, s11
	s_add_u32 s8, s23, s8
	s_addc_u32 s23, 0, s24
	s_add_u32 s8, s8, s12
	s_mul_i32 s11, s3, s11
	s_addc_u32 s8, s23, s25
	s_addc_u32 s12, s26, 0
	s_add_u32 s8, s8, s11
	s_addc_u32 s11, 0, s12
	v_add_co_u32 v1, s8, v1, s8
	s_delay_alu instid0(VALU_DEP_1) | instskip(SKIP_1) | instid1(VALU_DEP_1)
	s_cmp_lg_u32 s8, 0
	s_addc_u32 s3, s3, s11
	v_readfirstlane_b32 s8, v1
	s_mul_i32 s11, s9, s3
	s_delay_alu instid0(VALU_DEP_1)
	s_mul_hi_u32 s12, s9, s8
	s_mul_i32 s10, s10, s8
	s_add_i32 s11, s12, s11
	s_mul_i32 s9, s9, s8
	s_add_i32 s11, s11, s10
	s_mul_hi_u32 s12, s3, s9
	s_mul_i32 s23, s3, s9
	s_mul_hi_u32 s9, s8, s9
	s_mul_hi_u32 s24, s8, s11
	s_mul_i32 s8, s8, s11
	s_mul_hi_u32 s10, s3, s11
	s_add_u32 s8, s9, s8
	s_addc_u32 s9, 0, s24
	s_add_u32 s8, s8, s23
	s_mul_i32 s11, s3, s11
	s_addc_u32 s8, s9, s12
	s_addc_u32 s9, s10, 0
	s_add_u32 s8, s8, s11
	s_addc_u32 s9, 0, s9
	v_add_co_u32 v1, s8, v1, s8
	s_delay_alu instid0(VALU_DEP_1) | instskip(SKIP_1) | instid1(VALU_DEP_1)
	s_cmp_lg_u32 s8, 0
	s_addc_u32 s3, s3, s9
	v_readfirstlane_b32 s8, v1
	s_mul_i32 s9, s14, s3
	s_mul_hi_u32 s3, s14, s3
	s_delay_alu instid0(VALU_DEP_1) | instskip(NEXT) | instid1(SALU_CYCLE_1)
	s_mul_hi_u32 s8, s14, s8
	s_add_u32 s8, s8, s9
	s_addc_u32 s3, 0, s3
	s_add_u32 s8, s8, 0
	s_addc_u32 s3, s3, 0
	s_addc_u32 s8, 0, 0
	s_add_u32 s3, s3, 0
	s_addc_u32 s8, 0, s8
	s_mul_hi_u32 s9, s6, s3
	s_mul_i32 s8, s6, s8
	s_mul_i32 s10, s7, s3
	;; [unrolled: 1-line block ×3, first 2 shown]
	s_add_i32 s8, s9, s8
	v_sub_co_u32 v1, s3, s14, s3
	s_add_i32 s8, s8, s10
	s_delay_alu instid0(SALU_CYCLE_1) | instskip(SKIP_1) | instid1(VALU_DEP_1)
	s_sub_i32 s9, 0, s8
	s_cmp_lg_u32 s3, 0
	v_sub_co_u32 v2, s10, v1, s6
	s_subb_u32 s9, s9, s7
	s_cmp_lg_u32 s10, 0
	s_subb_u32 s11, s9, 0
	s_delay_alu instid0(VALU_DEP_1)
	v_cmp_le_u32_e32 vcc_lo, s6, v2
	s_cmp_ge_u32 s11, s7
	s_cselect_b32 s12, -1, 0
	s_cmp_eq_u32 s11, s7
	v_cndmask_b32_e64 v3, 0, -1, vcc_lo
	s_cselect_b32 vcc_lo, -1, 0
	s_cmp_lg_u32 s10, 0
	v_sub_co_u32 v4, s10, v2, s6
	s_subb_u32 s9, s9, s7
	s_cmp_lg_u32 s10, 0
	v_cndmask_b32_e32 v3, s12, v3, vcc_lo
	s_subb_u32 s9, s9, 0
	s_cmp_lg_u32 s3, 0
	v_cmp_le_u32_e32 vcc_lo, s6, v1
	s_subb_u32 s8, 0, s8
	s_delay_alu instid0(SALU_CYCLE_1)
	s_cmp_ge_u32 s8, s7
	v_cndmask_b32_e64 v5, 0, -1, vcc_lo
	s_cselect_b32 s6, -1, 0
	s_cmp_eq_u32 s8, s7
	v_cmp_ne_u32_e32 vcc_lo, 0, v3
	v_mov_b32_e32 v3, s9
	s_cselect_b32 s3, -1, 0
	s_delay_alu instid0(SALU_CYCLE_1) | instskip(SKIP_1) | instid1(VALU_DEP_3)
	v_cndmask_b32_e64 v5, s6, v5, s3
	v_cndmask_b32_e32 v2, v2, v4, vcc_lo
	v_cndmask_b32_e32 v3, s11, v3, vcc_lo
	s_mov_b32 s3, s15
	s_delay_alu instid0(VALU_DEP_3) | instskip(NEXT) | instid1(VALU_DEP_3)
	v_cmp_ne_u32_e32 vcc_lo, 0, v5
	v_cndmask_b32_e32 v1, v1, v2, vcc_lo
	s_delay_alu instid0(VALU_DEP_3) | instskip(NEXT) | instid1(VALU_DEP_2)
	v_cndmask_b32_e32 v3, s8, v3, vcc_lo
	v_sub_co_u32 v1, vcc_lo, v1, 0
	s_delay_alu instid0(VALU_DEP_2)
	v_subrev_co_ci_u32_e32 v2, vcc_lo, 0, v3, vcc_lo
	s_and_not1_b32 vcc_lo, exec_lo, s3
	s_cbranch_vccnz .LBB19_3
.LBB19_2:
	v_cvt_f32_u32_e32 v1, s22
	s_mov_b32 s7, 0
	s_sub_i32 s6, 0, s22
	s_delay_alu instid0(VALU_DEP_1) | instskip(SKIP_2) | instid1(VALU_DEP_1)
	v_rcp_iflag_f32_e32 v1, v1
	s_waitcnt_depctr 0xfff
	v_mul_f32_e32 v1, 0x4f7ffffe, v1
	v_cvt_u32_f32_e32 v1, v1
	s_delay_alu instid0(VALU_DEP_1) | instskip(NEXT) | instid1(VALU_DEP_1)
	v_readfirstlane_b32 s3, v1
	s_mul_i32 s6, s6, s3
	s_delay_alu instid0(SALU_CYCLE_1) | instskip(NEXT) | instid1(SALU_CYCLE_1)
	s_mul_hi_u32 s6, s3, s6
	s_add_i32 s3, s3, s6
	s_delay_alu instid0(SALU_CYCLE_1) | instskip(NEXT) | instid1(SALU_CYCLE_1)
	s_mul_hi_u32 s3, s14, s3
	s_mul_i32 s3, s3, s22
	s_delay_alu instid0(SALU_CYCLE_1) | instskip(NEXT) | instid1(SALU_CYCLE_1)
	s_sub_i32 s3, s14, s3
	s_sub_i32 s6, s3, s22
	s_cmp_ge_u32 s3, s22
	s_cselect_b32 s3, s6, s3
	s_delay_alu instid0(SALU_CYCLE_1) | instskip(SKIP_2) | instid1(SALU_CYCLE_1)
	s_sub_i32 s6, s3, s22
	s_cmp_ge_u32 s3, s22
	s_cselect_b32 s6, s6, s3
	v_dual_mov_b32 v1, s6 :: v_dual_mov_b32 v2, s7
.LBB19_3:
	s_load_b64 s[22:23], s[0:1], 0x90
	s_mov_b32 s6, 0
	s_mov_b32 s7, s5
	s_delay_alu instid0(SALU_CYCLE_1)
	s_cmp_lg_u64 s[6:7], 0
	s_cbranch_scc0 .LBB19_11
; %bb.4:
	s_ashr_i32 s8, s5, 31
	s_delay_alu instid0(SALU_CYCLE_1) | instskip(SKIP_2) | instid1(SALU_CYCLE_1)
	s_add_u32 s10, s4, s8
	s_mov_b32 s9, s8
	s_addc_u32 s11, s5, s8
	s_xor_b64 s[8:9], s[10:11], s[8:9]
	s_delay_alu instid0(SALU_CYCLE_1) | instskip(SKIP_3) | instid1(VALU_DEP_1)
	v_cvt_f32_u32_e32 v3, s8
	v_cvt_f32_u32_e32 v4, s9
	s_sub_u32 s7, 0, s8
	s_subb_u32 s10, 0, s9
	v_fmamk_f32 v3, v4, 0x4f800000, v3
	s_delay_alu instid0(VALU_DEP_1) | instskip(SKIP_2) | instid1(VALU_DEP_1)
	v_rcp_f32_e32 v3, v3
	s_waitcnt_depctr 0xfff
	v_mul_f32_e32 v3, 0x5f7ffffc, v3
	v_mul_f32_e32 v4, 0x2f800000, v3
	s_delay_alu instid0(VALU_DEP_1) | instskip(NEXT) | instid1(VALU_DEP_1)
	v_trunc_f32_e32 v4, v4
	v_fmamk_f32 v3, v4, 0xcf800000, v3
	v_cvt_u32_f32_e32 v4, v4
	s_delay_alu instid0(VALU_DEP_2) | instskip(NEXT) | instid1(VALU_DEP_2)
	v_cvt_u32_f32_e32 v3, v3
	v_readfirstlane_b32 s3, v4
	s_delay_alu instid0(VALU_DEP_2) | instskip(NEXT) | instid1(VALU_DEP_2)
	v_readfirstlane_b32 s5, v3
	s_mul_i32 s11, s7, s3
	s_delay_alu instid0(VALU_DEP_1)
	s_mul_hi_u32 s24, s7, s5
	s_mul_i32 s12, s10, s5
	s_add_i32 s11, s24, s11
	s_mul_i32 s25, s7, s5
	s_add_i32 s11, s11, s12
	s_mul_hi_u32 s24, s5, s25
	s_mul_hi_u32 s26, s3, s25
	s_mul_i32 s12, s3, s25
	s_mul_hi_u32 s25, s5, s11
	s_mul_i32 s5, s5, s11
	s_mul_hi_u32 s27, s3, s11
	s_add_u32 s5, s24, s5
	s_addc_u32 s24, 0, s25
	s_add_u32 s5, s5, s12
	s_mul_i32 s11, s3, s11
	s_addc_u32 s5, s24, s26
	s_addc_u32 s12, s27, 0
	s_add_u32 s5, s5, s11
	s_addc_u32 s11, 0, s12
	v_add_co_u32 v3, s5, v3, s5
	s_delay_alu instid0(VALU_DEP_1) | instskip(SKIP_1) | instid1(VALU_DEP_1)
	s_cmp_lg_u32 s5, 0
	s_addc_u32 s3, s3, s11
	v_readfirstlane_b32 s5, v3
	s_mul_i32 s11, s7, s3
	s_delay_alu instid0(VALU_DEP_1)
	s_mul_hi_u32 s12, s7, s5
	s_mul_i32 s10, s10, s5
	s_add_i32 s11, s12, s11
	s_mul_i32 s7, s7, s5
	s_add_i32 s11, s11, s10
	s_mul_hi_u32 s12, s3, s7
	s_mul_i32 s24, s3, s7
	s_mul_hi_u32 s7, s5, s7
	s_mul_hi_u32 s25, s5, s11
	s_mul_i32 s5, s5, s11
	s_mul_hi_u32 s10, s3, s11
	s_add_u32 s5, s7, s5
	s_addc_u32 s7, 0, s25
	s_add_u32 s5, s5, s24
	s_mul_i32 s11, s3, s11
	s_addc_u32 s5, s7, s12
	s_addc_u32 s7, s10, 0
	s_add_u32 s5, s5, s11
	s_addc_u32 s7, 0, s7
	v_add_co_u32 v3, s5, v3, s5
	s_delay_alu instid0(VALU_DEP_1) | instskip(SKIP_1) | instid1(VALU_DEP_1)
	s_cmp_lg_u32 s5, 0
	s_addc_u32 s3, s3, s7
	v_readfirstlane_b32 s5, v3
	s_mul_i32 s7, s2, s3
	s_mul_hi_u32 s3, s2, s3
	s_delay_alu instid0(VALU_DEP_1) | instskip(NEXT) | instid1(SALU_CYCLE_1)
	s_mul_hi_u32 s5, s2, s5
	s_add_u32 s5, s5, s7
	s_addc_u32 s3, 0, s3
	s_add_u32 s5, s5, 0
	s_addc_u32 s3, s3, 0
	s_addc_u32 s5, 0, 0
	s_add_u32 s3, s3, 0
	s_addc_u32 s5, 0, s5
	s_mul_hi_u32 s7, s8, s3
	s_mul_i32 s5, s8, s5
	s_mul_i32 s10, s9, s3
	;; [unrolled: 1-line block ×3, first 2 shown]
	s_add_i32 s5, s7, s5
	v_sub_co_u32 v3, s3, s2, s3
	s_add_i32 s5, s5, s10
	s_delay_alu instid0(SALU_CYCLE_1) | instskip(SKIP_1) | instid1(VALU_DEP_1)
	s_sub_i32 s7, 0, s5
	s_cmp_lg_u32 s3, 0
	v_sub_co_u32 v4, s10, v3, s8
	s_subb_u32 s7, s7, s9
	s_cmp_lg_u32 s10, 0
	s_subb_u32 s11, s7, 0
	s_delay_alu instid0(VALU_DEP_1)
	v_cmp_le_u32_e32 vcc_lo, s8, v4
	s_cmp_ge_u32 s11, s9
	s_cselect_b32 s12, -1, 0
	s_cmp_eq_u32 s11, s9
	v_cndmask_b32_e64 v5, 0, -1, vcc_lo
	s_cselect_b32 vcc_lo, -1, 0
	s_cmp_lg_u32 s10, 0
	v_sub_co_u32 v6, s10, v4, s8
	s_subb_u32 s7, s7, s9
	s_cmp_lg_u32 s10, 0
	v_cndmask_b32_e32 v5, s12, v5, vcc_lo
	s_subb_u32 s7, s7, 0
	s_cmp_lg_u32 s3, 0
	v_cmp_le_u32_e32 vcc_lo, s8, v3
	s_subb_u32 s5, 0, s5
	s_delay_alu instid0(SALU_CYCLE_1)
	s_cmp_ge_u32 s5, s9
	v_cndmask_b32_e64 v7, 0, -1, vcc_lo
	s_cselect_b32 s8, -1, 0
	s_cmp_eq_u32 s5, s9
	v_cmp_ne_u32_e32 vcc_lo, 0, v5
	v_mov_b32_e32 v5, s7
	s_cselect_b32 s3, -1, 0
	s_delay_alu instid0(SALU_CYCLE_1) | instskip(SKIP_1) | instid1(VALU_DEP_3)
	v_cndmask_b32_e64 v7, s8, v7, s3
	v_cndmask_b32_e32 v4, v4, v6, vcc_lo
	v_cndmask_b32_e32 v5, s11, v5, vcc_lo
	s_delay_alu instid0(VALU_DEP_3) | instskip(NEXT) | instid1(VALU_DEP_3)
	v_cmp_ne_u32_e32 vcc_lo, 0, v7
	v_cndmask_b32_e32 v3, v3, v4, vcc_lo
	s_delay_alu instid0(VALU_DEP_3) | instskip(NEXT) | instid1(VALU_DEP_2)
	v_cndmask_b32_e32 v5, s5, v5, vcc_lo
	v_sub_co_u32 v3, vcc_lo, v3, 0
	s_delay_alu instid0(VALU_DEP_2)
	v_subrev_co_ci_u32_e32 v4, vcc_lo, 0, v5, vcc_lo
	s_and_not1_b32 vcc_lo, exec_lo, s6
	s_cbranch_vccnz .LBB19_6
.LBB19_5:
	v_cvt_f32_u32_e32 v3, s4
	s_sub_i32 s5, 0, s4
	s_delay_alu instid0(VALU_DEP_1) | instskip(SKIP_2) | instid1(VALU_DEP_1)
	v_rcp_iflag_f32_e32 v3, v3
	s_waitcnt_depctr 0xfff
	v_mul_f32_e32 v3, 0x4f7ffffe, v3
	v_cvt_u32_f32_e32 v3, v3
	s_delay_alu instid0(VALU_DEP_1) | instskip(NEXT) | instid1(VALU_DEP_1)
	v_readfirstlane_b32 s3, v3
	s_mul_i32 s5, s5, s3
	s_delay_alu instid0(SALU_CYCLE_1) | instskip(NEXT) | instid1(SALU_CYCLE_1)
	s_mul_hi_u32 s5, s3, s5
	s_add_i32 s3, s3, s5
	s_delay_alu instid0(SALU_CYCLE_1) | instskip(NEXT) | instid1(SALU_CYCLE_1)
	s_mul_hi_u32 s3, s2, s3
	s_mul_i32 s3, s3, s4
	s_delay_alu instid0(SALU_CYCLE_1) | instskip(NEXT) | instid1(SALU_CYCLE_1)
	s_sub_i32 s3, s2, s3
	s_sub_i32 s5, s3, s4
	s_cmp_ge_u32 s3, s4
	s_cselect_b32 s3, s5, s3
	s_mov_b32 s5, 0
	s_sub_i32 s6, s3, s4
	s_cmp_ge_u32 s3, s4
	s_cselect_b32 s4, s6, s3
	s_delay_alu instid0(SALU_CYCLE_1)
	v_dual_mov_b32 v3, s4 :: v_dual_mov_b32 v4, s5
.LBB19_6:
	s_load_b64 s[24:25], s[0:1], 0xa0
	s_waitcnt lgkmcnt(0)
	v_cmp_le_f32_e64 s3, s23, 0
	v_mov_b32_e32 v6, 1.0
	s_delay_alu instid0(VALU_DEP_2)
	s_and_b32 vcc_lo, exec_lo, s3
	s_cbranch_vccnz .LBB19_8
; %bb.7:
	s_clause 0x1
	s_load_b32 s3, s[0:1], 0x28
	s_load_b64 s[4:5], s[0:1], 0x98
	s_add_i32 s7, s14, 1
	s_waitcnt lgkmcnt(0)
	s_sub_i32 s6, s14, s3
	v_mov_b32_e32 v5, s4
	s_lshl_b32 s6, s6, 1
	s_delay_alu instid0(SALU_CYCLE_1)
	s_or_b32 s4, s6, 1
	s_cmp_lt_u32 s14, s3
	s_cselect_b32 vcc_lo, -1, 0
	v_cndmask_b32_e32 v7, s5, v5, vcc_lo
	s_and_b32 s3, vcc_lo, exec_lo
	s_cselect_b32 s3, s7, s4
	s_mov_b32 s4, 0x3e76c4e1
	v_cvt_f32_i32_e32 v5, s3
	v_cmp_neq_f32_e32 vcc_lo, 1.0, v7
	s_delay_alu instid0(VALU_DEP_2) | instskip(NEXT) | instid1(VALU_DEP_1)
	v_cndmask_b32_e32 v8, 1.0, v5, vcc_lo
	v_cmp_eq_f32_e32 vcc_lo, 0, v8
	v_cndmask_b32_e64 v9, |v7|, 1.0, vcc_lo
	s_delay_alu instid0(VALU_DEP_1) | instskip(NEXT) | instid1(VALU_DEP_1)
	v_frexp_mant_f32_e32 v5, v9
	v_cmp_gt_f32_e64 s3, 0x3f2aaaab, v5
	s_delay_alu instid0(VALU_DEP_1) | instskip(NEXT) | instid1(VALU_DEP_1)
	v_cndmask_b32_e64 v6, 1.0, 2.0, s3
	v_mul_f32_e32 v5, v5, v6
	s_delay_alu instid0(VALU_DEP_1) | instskip(SKIP_1) | instid1(VALU_DEP_2)
	v_add_f32_e32 v6, 1.0, v5
	v_add_f32_e32 v11, -1.0, v5
	v_rcp_f32_e32 v10, v6
	s_waitcnt_depctr 0xfff
	v_mul_f32_e32 v12, v11, v10
	s_delay_alu instid0(VALU_DEP_1) | instskip(NEXT) | instid1(VALU_DEP_1)
	v_dual_add_f32 v13, -1.0, v6 :: v_dual_mul_f32 v14, v6, v12
	v_sub_f32_e32 v5, v5, v13
	v_cndmask_b32_e64 v7, v7, 1.0, vcc_lo
	s_delay_alu instid0(VALU_DEP_3) | instskip(NEXT) | instid1(VALU_DEP_2)
	v_fma_f32 v6, v12, v6, -v14
	v_cmp_eq_f32_e64 s5, 0, v7
	s_delay_alu instid0(VALU_DEP_2) | instskip(NEXT) | instid1(VALU_DEP_1)
	v_fmac_f32_e32 v6, v12, v5
	v_add_f32_e32 v5, v14, v6
	s_delay_alu instid0(VALU_DEP_1) | instskip(NEXT) | instid1(VALU_DEP_1)
	v_dual_sub_f32 v14, v5, v14 :: v_dual_sub_f32 v13, v11, v5
	v_dual_sub_f32 v6, v14, v6 :: v_dual_sub_f32 v11, v11, v13
	s_delay_alu instid0(VALU_DEP_1) | instskip(NEXT) | instid1(VALU_DEP_1)
	v_sub_f32_e32 v5, v11, v5
	v_add_f32_e32 v5, v6, v5
	s_delay_alu instid0(VALU_DEP_1) | instskip(NEXT) | instid1(VALU_DEP_1)
	v_add_f32_e32 v5, v13, v5
	v_mul_f32_e32 v5, v10, v5
	s_delay_alu instid0(VALU_DEP_1) | instskip(NEXT) | instid1(VALU_DEP_1)
	v_add_f32_e32 v10, v12, v5
	v_sub_f32_e32 v6, v10, v12
	v_mul_f32_e32 v11, v10, v10
	s_delay_alu instid0(VALU_DEP_2) | instskip(NEXT) | instid1(VALU_DEP_2)
	v_sub_f32_e32 v12, v5, v6
	v_fma_f32 v13, v10, v10, -v11
	s_delay_alu instid0(VALU_DEP_2) | instskip(NEXT) | instid1(VALU_DEP_1)
	v_add_f32_e32 v5, v12, v12
	v_fmac_f32_e32 v13, v10, v5
	v_cvt_f64_f32_e32 v[5:6], v9
	s_delay_alu instid0(VALU_DEP_2) | instskip(NEXT) | instid1(VALU_DEP_1)
	v_add_f32_e32 v14, v11, v13
	v_fmaak_f32 v15, s4, v14, 0x3e91f4c4
	v_sub_f32_e32 v11, v14, v11
	v_mul_f32_e32 v18, v10, v14
	s_delay_alu instid0(VALU_DEP_3) | instskip(NEXT) | instid1(VALU_DEP_3)
	v_fmaak_f32 v15, v14, v15, 0x3ecccdef
	v_sub_f32_e32 v11, v13, v11
	s_delay_alu instid0(VALU_DEP_2) | instskip(NEXT) | instid1(VALU_DEP_1)
	v_mul_f32_e32 v16, v14, v15
	v_fma_f32 v13, v14, v15, -v16
	s_delay_alu instid0(VALU_DEP_1) | instskip(NEXT) | instid1(VALU_DEP_1)
	v_fmac_f32_e32 v13, v11, v15
	v_add_f32_e32 v15, v16, v13
	v_frexp_exp_i32_f64_e32 v5, v[5:6]
	s_delay_alu instid0(VALU_DEP_2) | instskip(NEXT) | instid1(VALU_DEP_1)
	v_sub_f32_e32 v16, v15, v16
	v_sub_f32_e32 v6, v13, v16
	v_fma_f32 v16, v14, v10, -v18
	s_delay_alu instid0(VALU_DEP_2) | instskip(NEXT) | instid1(VALU_DEP_2)
	v_add_f32_e32 v6, 0x31739010, v6
	v_dual_add_f32 v17, 0x3f2aaaaa, v15 :: v_dual_fmac_f32 v16, v14, v12
	v_ldexp_f32 v12, v12, 1
	s_delay_alu instid0(VALU_DEP_2) | instskip(NEXT) | instid1(VALU_DEP_1)
	v_dual_add_f32 v13, 0xbf2aaaaa, v17 :: v_dual_fmac_f32 v16, v11, v10
	v_sub_f32_e32 v13, v15, v13
	s_delay_alu instid0(VALU_DEP_1) | instskip(NEXT) | instid1(VALU_DEP_3)
	v_add_f32_e32 v6, v6, v13
	v_add_f32_e32 v13, v18, v16
	s_delay_alu instid0(VALU_DEP_2) | instskip(NEXT) | instid1(VALU_DEP_1)
	v_add_f32_e32 v11, v17, v6
	v_sub_f32_e32 v14, v17, v11
	s_delay_alu instid0(VALU_DEP_3) | instskip(SKIP_2) | instid1(VALU_DEP_4)
	v_mul_f32_e32 v15, v13, v11
	v_sub_f32_e32 v17, v13, v18
	v_subrev_co_ci_u32_e64 v5, s3, 0, v5, s3
	v_add_f32_e32 v6, v6, v14
	s_delay_alu instid0(VALU_DEP_4) | instskip(NEXT) | instid1(VALU_DEP_4)
	v_fma_f32 v14, v13, v11, -v15
	v_sub_f32_e32 v16, v16, v17
	s_delay_alu instid0(VALU_DEP_4) | instskip(NEXT) | instid1(VALU_DEP_3)
	v_cvt_f32_i32_e32 v5, v5
	v_fmac_f32_e32 v14, v13, v6
	v_ldexp_f32 v6, v10, 1
	s_delay_alu instid0(VALU_DEP_2) | instskip(NEXT) | instid1(VALU_DEP_1)
	v_fmac_f32_e32 v14, v16, v11
	v_add_f32_e32 v10, v15, v14
	s_delay_alu instid0(VALU_DEP_1) | instskip(NEXT) | instid1(VALU_DEP_1)
	v_add_f32_e32 v11, v6, v10
	v_dual_sub_f32 v6, v11, v6 :: v_dual_sub_f32 v13, v10, v15
	s_delay_alu instid0(VALU_DEP_1) | instskip(NEXT) | instid1(VALU_DEP_2)
	v_sub_f32_e32 v6, v10, v6
	v_sub_f32_e32 v13, v14, v13
	s_delay_alu instid0(VALU_DEP_1) | instskip(NEXT) | instid1(VALU_DEP_1)
	v_add_f32_e32 v10, v12, v13
	v_dual_mul_f32 v15, 0x3f317218, v5 :: v_dual_add_f32 v6, v10, v6
	s_delay_alu instid0(VALU_DEP_1) | instskip(NEXT) | instid1(VALU_DEP_2)
	v_fma_f32 v14, 0x3f317218, v5, -v15
	v_add_f32_e32 v12, v11, v6
	s_delay_alu instid0(VALU_DEP_1) | instskip(NEXT) | instid1(VALU_DEP_1)
	v_sub_f32_e32 v11, v12, v11
	v_dual_fmamk_f32 v5, v5, 0xb102e308, v14 :: v_dual_sub_f32 v6, v6, v11
	s_delay_alu instid0(VALU_DEP_1) | instskip(NEXT) | instid1(VALU_DEP_1)
	v_add_f32_e32 v10, v15, v5
	v_add_f32_e32 v13, v10, v12
	s_delay_alu instid0(VALU_DEP_1) | instskip(NEXT) | instid1(VALU_DEP_1)
	v_dual_sub_f32 v15, v10, v15 :: v_dual_sub_f32 v14, v13, v10
	v_sub_f32_e32 v16, v13, v14
	s_delay_alu instid0(VALU_DEP_2) | instskip(NEXT) | instid1(VALU_DEP_2)
	v_sub_f32_e32 v5, v5, v15
	v_dual_sub_f32 v11, v12, v14 :: v_dual_sub_f32 v10, v10, v16
	s_delay_alu instid0(VALU_DEP_2) | instskip(NEXT) | instid1(VALU_DEP_2)
	v_add_f32_e32 v12, v5, v6
	v_add_f32_e32 v10, v11, v10
	s_delay_alu instid0(VALU_DEP_1) | instskip(NEXT) | instid1(VALU_DEP_1)
	v_add_f32_e32 v10, v12, v10
	v_dual_sub_f32 v11, v12, v5 :: v_dual_add_f32 v14, v13, v10
	s_delay_alu instid0(VALU_DEP_1) | instskip(SKIP_1) | instid1(VALU_DEP_3)
	v_sub_f32_e32 v12, v12, v11
	v_sub_f32_e32 v6, v6, v11
	v_sub_f32_e32 v11, v14, v13
	s_delay_alu instid0(VALU_DEP_3) | instskip(NEXT) | instid1(VALU_DEP_1)
	v_sub_f32_e32 v5, v5, v12
	v_add_f32_e32 v5, v6, v5
	s_delay_alu instid0(VALU_DEP_3) | instskip(NEXT) | instid1(VALU_DEP_1)
	v_sub_f32_e32 v6, v10, v11
	v_add_f32_e32 v5, v5, v6
	s_delay_alu instid0(VALU_DEP_1) | instskip(NEXT) | instid1(VALU_DEP_1)
	v_add_f32_e32 v6, v14, v5
	v_mul_f32_e32 v11, v8, v6
	v_sub_f32_e32 v10, v6, v14
	s_delay_alu instid0(VALU_DEP_2) | instskip(NEXT) | instid1(VALU_DEP_2)
	v_fma_f32 v6, v8, v6, -v11
	v_sub_f32_e32 v5, v5, v10
	v_cmp_class_f32_e64 s3, v11, 0x204
	s_delay_alu instid0(VALU_DEP_2) | instskip(NEXT) | instid1(VALU_DEP_1)
	v_fmac_f32_e32 v6, v8, v5
	v_add_f32_e32 v5, v11, v6
	s_delay_alu instid0(VALU_DEP_1) | instskip(NEXT) | instid1(VALU_DEP_1)
	v_cndmask_b32_e64 v10, v5, v11, s3
	v_cmp_eq_f32_e64 s3, 0x42b17218, v10
	s_delay_alu instid0(VALU_DEP_1) | instskip(SKIP_1) | instid1(VALU_DEP_2)
	v_cndmask_b32_e64 v12, 0, 0x37000000, s3
	v_cmp_neq_f32_e64 s3, 0x7f800000, |v10|
	v_sub_f32_e32 v13, v10, v12
	v_trunc_f32_e32 v10, v8
	s_delay_alu instid0(VALU_DEP_2) | instskip(NEXT) | instid1(VALU_DEP_1)
	v_mul_f32_e32 v14, 0x3fb8aa3b, v13
	v_fma_f32 v15, 0x3fb8aa3b, v13, -v14
	v_rndne_f32_e32 v16, v14
	s_delay_alu instid0(VALU_DEP_1) | instskip(NEXT) | instid1(VALU_DEP_1)
	v_dual_fmamk_f32 v15, v13, 0x32a5705f, v15 :: v_dual_sub_f32 v14, v14, v16
	v_add_f32_e32 v14, v14, v15
	v_sub_f32_e32 v5, v5, v11
	v_cvt_i32_f32_e32 v11, v16
	s_delay_alu instid0(VALU_DEP_3) | instskip(NEXT) | instid1(VALU_DEP_2)
	v_exp_f32_e32 v14, v14
	v_sub_f32_e32 v5, v6, v5
	s_delay_alu instid0(VALU_DEP_1)
	v_cndmask_b32_e64 v5, 0, v5, s3
	v_cmp_ngt_f32_e64 s3, 0xc2ce8ed0, v13
	s_waitcnt_depctr 0xfff
	v_ldexp_f32 v6, v14, v11
	v_mul_f32_e32 v11, 0.5, v8
	v_add_f32_e32 v5, v12, v5
	s_delay_alu instid0(VALU_DEP_3) | instskip(NEXT) | instid1(VALU_DEP_3)
	v_cndmask_b32_e64 v6, 0, v6, s3
	v_trunc_f32_e32 v14, v11
	v_cmp_nlt_f32_e64 s3, 0x42b17218, v13
	s_delay_alu instid0(VALU_DEP_2) | instskip(NEXT) | instid1(VALU_DEP_2)
	v_cmp_neq_f32_e64 s4, v14, v11
	v_cndmask_b32_e64 v6, 0x7f800000, v6, s3
	v_cmp_eq_f32_e64 s3, v10, v8
	s_delay_alu instid0(VALU_DEP_2) | instskip(NEXT) | instid1(VALU_DEP_2)
	v_fma_f32 v5, v6, v5, v6
	s_and_b32 vcc_lo, s3, s4
	v_cmp_class_f32_e64 s4, v6, 0x204
	v_cndmask_b32_e32 v10, 1.0, v7, vcc_lo
	s_delay_alu instid0(VALU_DEP_2) | instskip(SKIP_1) | instid1(VALU_DEP_2)
	v_cndmask_b32_e64 v5, v5, v6, s4
	v_cmp_gt_f32_e64 s4, 0, v8
	v_bfi_b32 v5, 0x7fffffff, v5, v10
	s_delay_alu instid0(VALU_DEP_2)
	s_xor_b32 s4, s4, s5
	v_cndmask_b32_e32 v10, 0, v7, vcc_lo
	v_cndmask_b32_e64 v6, 0x7f800000, 0, s4
	v_cmp_eq_f32_e32 vcc_lo, 0x7f800000, v9
	v_cndmask_b32_e64 v8, 0x7fc00000, v5, s3
	v_cmp_gt_f32_e64 s3, 0, v7
	s_delay_alu instid0(VALU_DEP_4) | instskip(SKIP_1) | instid1(VALU_DEP_2)
	v_bfi_b32 v6, 0x7fffffff, v6, v10
	s_or_b32 vcc_lo, vcc_lo, s5
	v_cndmask_b32_e64 v5, v5, v8, s3
	s_delay_alu instid0(VALU_DEP_1) | instskip(SKIP_1) | instid1(VALU_DEP_2)
	v_cndmask_b32_e32 v5, v5, v6, vcc_lo
	v_cmp_o_f32_e32 vcc_lo, v7, v7
	v_cndmask_b32_e32 v6, 0x7fc00000, v5, vcc_lo
.LBB19_8:
	s_load_b256 s[4:11], s[0:1], 0x0
	s_waitcnt lgkmcnt(0)
	s_cmp_lg_u64 s[8:9], 0
	s_cselect_b32 s12, -1, 0
	s_cmp_eq_u64 s[8:9], 0
	s_cbranch_scc1 .LBB19_12
; %bb.9:
	s_lshl_b64 s[0:1], s[14:15], 2
	s_delay_alu instid0(SALU_CYCLE_1)
	s_add_u32 s0, s8, s0
	s_addc_u32 s1, s9, s1
	s_load_b32 s0, s[0:1], 0x0
	s_branch .LBB19_13
.LBB19_10:
                                        ; implicit-def: $vgpr1_vgpr2
	s_branch .LBB19_2
.LBB19_11:
                                        ; implicit-def: $vgpr3_vgpr4
	s_branch .LBB19_5
.LBB19_12:
	s_mov_b32 s0, 0xff800000
.LBB19_13:
	s_mul_i32 s1, s25, s2
	v_dual_mov_b32 v8, 0 :: v_dual_lshlrev_b32 v5, 2, v0
	s_add_i32 s1, s1, s14
	s_delay_alu instid0(SALU_CYCLE_1) | instskip(NEXT) | instid1(SALU_CYCLE_1)
	s_mul_i32 s1, s1, s24
	s_add_i32 s2, s1, s13
	s_delay_alu instid0(SALU_CYCLE_1) | instskip(NEXT) | instid1(SALU_CYCLE_1)
	s_ashr_i32 s3, s2, 31
	s_lshl_b64 s[24:25], s[2:3], 9
	s_delay_alu instid0(SALU_CYCLE_1)
	s_add_u32 s4, s4, s24
	s_addc_u32 s5, s5, s25
	s_cmp_eq_u64 s[6:7], 0
	global_load_b32 v7, v5, s[4:5]
	s_cselect_b32 s1, -1, 0
	s_cmp_lg_u64 s[6:7], 0
	s_cbranch_scc0 .LBB19_15
; %bb.14:
	v_mul_lo_u32 v8, v1, s19
	v_mul_hi_u32 v9, v1, s18
	v_mul_lo_u32 v10, v3, s21
	v_mul_hi_u32 v11, v3, s20
	v_mul_lo_u32 v2, v2, s18
	v_mul_lo_u32 v1, v1, s18
	;; [unrolled: 1-line block ×4, first 2 shown]
	s_mul_i32 s4, s17, s13
	v_add_nc_u32_e32 v8, v9, v8
	s_mul_hi_u32 s5, s16, s13
	v_add_nc_u32_e32 v9, v11, v10
	s_mul_i32 s13, s16, s13
	s_add_i32 s5, s5, s4
	v_add_nc_u32_e32 v2, v8, v2
	v_add_co_u32 v1, vcc_lo, v1, s13
	v_add_nc_u32_e32 v4, v9, v4
	s_delay_alu instid0(VALU_DEP_3) | instskip(NEXT) | instid1(VALU_DEP_3)
	v_add_co_ci_u32_e32 v2, vcc_lo, s5, v2, vcc_lo
	v_add_co_u32 v1, vcc_lo, v1, v3
	s_delay_alu instid0(VALU_DEP_2) | instskip(NEXT) | instid1(VALU_DEP_1)
	v_add_co_ci_u32_e32 v2, vcc_lo, v2, v4, vcc_lo
	v_lshrrev_b64 v[1:2], 2, v[1:2]
	s_delay_alu instid0(VALU_DEP_1) | instskip(NEXT) | instid1(VALU_DEP_2)
	v_cndmask_b32_e64 v2, v2, 0, s1
	v_cndmask_b32_e64 v1, v1, 0, s1
	s_delay_alu instid0(VALU_DEP_1) | instskip(NEXT) | instid1(VALU_DEP_1)
	v_lshlrev_b64 v[1:2], 2, v[1:2]
	v_add_co_u32 v1, vcc_lo, s6, v1
	s_delay_alu instid0(VALU_DEP_2) | instskip(NEXT) | instid1(VALU_DEP_2)
	v_add_co_ci_u32_e32 v2, vcc_lo, s7, v2, vcc_lo
	v_readfirstlane_b32 s4, v1
	s_delay_alu instid0(VALU_DEP_2)
	v_readfirstlane_b32 s5, v2
	global_load_b32 v1, v5, s[4:5]
	s_waitcnt vmcnt(0)
	v_mul_f32_e32 v8, v6, v1
.LBB19_15:
	v_mbcnt_lo_u32_b32 v1, -1, 0
	s_waitcnt lgkmcnt(0)
	v_max_f32_e64 v3, s0, s0
	s_delay_alu instid0(VALU_DEP_2) | instskip(SKIP_1) | instid1(VALU_DEP_2)
	v_xor_b32_e32 v2, 16, v1
	v_xor_b32_e32 v6, 8, v1
	v_cmp_gt_i32_e32 vcc_lo, 32, v2
	v_cndmask_b32_e32 v2, v1, v2, vcc_lo
	s_delay_alu instid0(VALU_DEP_3) | instskip(NEXT) | instid1(VALU_DEP_2)
	v_cmp_gt_i32_e32 vcc_lo, 32, v6
	v_lshlrev_b32_e32 v2, 2, v2
	v_cndmask_b32_e32 v6, v1, v6, vcc_lo
	s_waitcnt vmcnt(0)
	v_fmac_f32_e32 v8, s22, v7
	s_delay_alu instid0(VALU_DEP_1) | instskip(SKIP_3) | instid1(VALU_DEP_1)
	v_max_f32_e32 v4, v3, v8
	ds_bpermute_b32 v3, v2, v4
	s_waitcnt lgkmcnt(0)
	v_max_f32_e32 v7, v3, v3
	v_dual_max_f32 v6, v4, v7 :: v_dual_lshlrev_b32 v3, 2, v6
	v_xor_b32_e32 v7, 4, v1
	ds_bpermute_b32 v4, v3, v6
	v_cmp_gt_i32_e32 vcc_lo, 32, v7
	v_cndmask_b32_e32 v7, v1, v7, vcc_lo
	s_waitcnt lgkmcnt(0)
	s_delay_alu instid0(VALU_DEP_1) | instskip(NEXT) | instid1(VALU_DEP_1)
	v_dual_max_f32 v9, v4, v4 :: v_dual_lshlrev_b32 v4, 2, v7
	v_max_f32_e32 v7, v6, v9
	v_xor_b32_e32 v9, 2, v1
	ds_bpermute_b32 v6, v4, v7
	v_cmp_gt_i32_e32 vcc_lo, 32, v9
	s_waitcnt lgkmcnt(0)
	v_dual_cndmask_b32 v9, v1, v9 :: v_dual_max_f32 v10, v6, v6
	s_delay_alu instid0(VALU_DEP_1)
	v_dual_max_f32 v7, v7, v10 :: v_dual_lshlrev_b32 v6, 2, v9
	v_xor_b32_e32 v10, 1, v1
	ds_bpermute_b32 v9, v6, v7
	v_cmp_gt_i32_e32 vcc_lo, 32, v10
	s_waitcnt lgkmcnt(0)
	v_max_f32_e32 v9, v9, v9
	s_delay_alu instid0(VALU_DEP_1) | instskip(NEXT) | instid1(VALU_DEP_1)
	v_dual_cndmask_b32 v1, v1, v10 :: v_dual_max_f32 v10, v7, v9
	v_lshlrev_b32_e32 v7, 2, v1
	v_and_b32_e32 v9, 31, v0
	v_lshl_add_u32 v1, v0, 2, 0
	v_lshrrev_b32_e32 v0, 3, v0
	ds_bpermute_b32 v11, v7, v10
	v_cmp_eq_u32_e32 vcc_lo, 0, v9
	ds_store_b32 v1, v8 offset:128
	s_and_saveexec_b32 s0, vcc_lo
	s_delay_alu instid0(SALU_CYCLE_1)
	s_xor_b32 s0, exec_lo, s0
	s_cbranch_execz .LBB19_17
; %bb.16:
	s_waitcnt lgkmcnt(1)
	v_max_f32_e32 v8, v11, v11
	v_max_f32_e32 v10, v10, v10
	s_delay_alu instid0(VALU_DEP_1)
	v_max_f32_e32 v8, v10, v8
	v_add_nc_u32_e32 v10, 0, v0
	ds_store_b32 v10, v8
.LBB19_17:
	s_or_b32 exec_lo, exec_lo, s0
	v_cmp_gt_u32_e64 s0, 4, v9
	v_mov_b32_e32 v10, 0xff800000
	v_lshl_add_u32 v8, v9, 2, 0
	s_waitcnt lgkmcnt(0)
	s_barrier
	buffer_gl0_inv
	s_and_saveexec_b32 s1, s0
	s_cbranch_execz .LBB19_19
; %bb.18:
	ds_load_b32 v10, v8
.LBB19_19:
	s_or_b32 exec_lo, exec_lo, s1
	s_waitcnt lgkmcnt(0)
	ds_bpermute_b32 v9, v2, v10
	v_max_f32_e32 v10, v10, v10
	ds_load_b32 v11, v1 offset:128
	s_waitcnt lgkmcnt(1)
	v_max_f32_e32 v9, v9, v9
	s_delay_alu instid0(VALU_DEP_1) | instskip(SKIP_3) | instid1(VALU_DEP_1)
	v_max_f32_e32 v9, v10, v9
	ds_bpermute_b32 v10, v3, v9
	s_waitcnt lgkmcnt(0)
	v_max_f32_e32 v10, v10, v10
	v_max_f32_e32 v9, v9, v10
	ds_bpermute_b32 v10, v4, v9
	s_waitcnt lgkmcnt(0)
	v_max_f32_e32 v10, v10, v10
	s_delay_alu instid0(VALU_DEP_1) | instskip(SKIP_3) | instid1(VALU_DEP_1)
	v_max_f32_e32 v9, v9, v10
	ds_bpermute_b32 v10, v6, v9
	s_waitcnt lgkmcnt(0)
	v_max_f32_e32 v10, v10, v10
	v_max_f32_e32 v9, v9, v10
	ds_bpermute_b32 v10, v7, v9
	s_waitcnt lgkmcnt(0)
	v_max_f32_e32 v10, v10, v10
	s_delay_alu instid0(VALU_DEP_1) | instskip(NEXT) | instid1(VALU_DEP_1)
	v_max_f32_e32 v9, v9, v10
	v_sub_f32_e32 v10, v11, v9
	s_delay_alu instid0(VALU_DEP_1) | instskip(SKIP_1) | instid1(VALU_DEP_2)
	v_mul_f32_e32 v11, 0x3fb8aa3b, v10
	v_cmp_ngt_f32_e64 s1, 0xc2ce8ed0, v10
	v_fma_f32 v12, 0x3fb8aa3b, v10, -v11
	v_rndne_f32_e32 v13, v11
	s_delay_alu instid0(VALU_DEP_1) | instskip(NEXT) | instid1(VALU_DEP_1)
	v_dual_fmamk_f32 v12, v10, 0x32a5705f, v12 :: v_dual_sub_f32 v11, v11, v13
	v_add_f32_e32 v11, v11, v12
	v_cvt_i32_f32_e32 v12, v13
	s_delay_alu instid0(VALU_DEP_2) | instskip(SKIP_2) | instid1(VALU_DEP_1)
	v_exp_f32_e32 v11, v11
	s_waitcnt_depctr 0xfff
	v_ldexp_f32 v11, v11, v12
	v_cndmask_b32_e64 v11, 0, v11, s1
	v_cmp_nlt_f32_e64 s1, 0x42b17218, v10
	s_delay_alu instid0(VALU_DEP_1)
	v_cndmask_b32_e64 v12, 0x7f800000, v11, s1
	ds_bpermute_b32 v10, v2, v12
	ds_store_b32 v1, v12 offset:128
	s_waitcnt lgkmcnt(1)
	v_add_f32_e32 v10, v12, v10
	ds_bpermute_b32 v11, v3, v10
	s_waitcnt lgkmcnt(0)
	v_add_f32_e32 v10, v10, v11
	ds_bpermute_b32 v11, v4, v10
	;; [unrolled: 3-line block ×4, first 2 shown]
	s_and_saveexec_b32 s1, vcc_lo
	s_cbranch_execz .LBB19_21
; %bb.20:
	s_waitcnt lgkmcnt(0)
	v_add_f32_e32 v10, v10, v11
	v_add_nc_u32_e32 v0, 0, v0
	ds_store_b32 v0, v10
.LBB19_21:
	s_or_b32 exec_lo, exec_lo, s1
	v_mov_b32_e32 v0, 0
	s_waitcnt lgkmcnt(0)
	s_barrier
	buffer_gl0_inv
	s_and_saveexec_b32 s1, s0
	s_cbranch_execz .LBB19_23
; %bb.22:
	ds_load_b32 v0, v8
.LBB19_23:
	s_or_b32 exec_lo, exec_lo, s1
	s_waitcnt lgkmcnt(0)
	ds_bpermute_b32 v2, v2, v0
	s_and_not1_b32 vcc_lo, exec_lo, s12
	s_lshl_b64 s[0:1], s[2:3], 7
	s_waitcnt lgkmcnt(0)
	v_add_f32_e32 v0, v0, v2
	ds_bpermute_b32 v2, v3, v0
	s_waitcnt lgkmcnt(0)
	v_add_f32_e32 v0, v0, v2
	ds_bpermute_b32 v2, v4, v0
	;; [unrolled: 3-line block ×4, first 2 shown]
	s_waitcnt lgkmcnt(0)
	v_add_f32_e32 v0, v0, v2
	s_cbranch_vccnz .LBB19_25
; %bb.24:
	s_lshl_b64 s[2:3], s[14:15], 2
	s_delay_alu instid0(SALU_CYCLE_1) | instskip(SKIP_4) | instid1(VALU_DEP_1)
	s_add_u32 s2, s8, s2
	s_addc_u32 s3, s9, s3
	s_load_b32 s2, s[2:3], 0x0
	s_waitcnt lgkmcnt(0)
	v_sub_f32_e32 v2, s2, v9
	v_mul_f32_e32 v3, 0x3fb8aa3b, v2
	s_delay_alu instid0(VALU_DEP_1) | instskip(SKIP_1) | instid1(VALU_DEP_1)
	v_fma_f32 v4, 0x3fb8aa3b, v2, -v3
	v_rndne_f32_e32 v6, v3
	v_sub_f32_e32 v3, v3, v6
	v_cmp_ngt_f32_e32 vcc_lo, 0xc2ce8ed0, v2
	s_delay_alu instid0(VALU_DEP_4) | instskip(NEXT) | instid1(VALU_DEP_1)
	v_fmamk_f32 v4, v2, 0x32a5705f, v4
	v_add_f32_e32 v3, v3, v4
	v_cvt_i32_f32_e32 v4, v6
	s_delay_alu instid0(VALU_DEP_2) | instskip(SKIP_2) | instid1(VALU_DEP_1)
	v_exp_f32_e32 v3, v3
	s_waitcnt_depctr 0xfff
	v_ldexp_f32 v3, v3, v4
	v_cndmask_b32_e32 v3, 0, v3, vcc_lo
	v_cmp_nlt_f32_e32 vcc_lo, 0x42b17218, v2
	s_delay_alu instid0(VALU_DEP_2) | instskip(NEXT) | instid1(VALU_DEP_1)
	v_cndmask_b32_e32 v2, 0x7f800000, v3, vcc_lo
	v_add_f32_e32 v0, v0, v2
.LBB19_25:
	s_delay_alu instid0(VALU_DEP_1) | instskip(SKIP_4) | instid1(SALU_CYCLE_1)
	v_div_scale_f32 v2, null, v0, v0, 1.0
	v_div_scale_f32 v6, vcc_lo, 1.0, v0, 1.0
	ds_load_b32 v1, v1 offset:128
	v_rcp_f32_e32 v3, v2
	s_lshl_b64 s[0:1], s[0:1], 2
	s_add_u32 s0, s10, s0
	s_addc_u32 s1, s11, s1
	s_waitcnt_depctr 0xfff
	v_fma_f32 v4, -v2, v3, 1.0
	s_delay_alu instid0(VALU_DEP_1) | instskip(NEXT) | instid1(VALU_DEP_1)
	v_fmac_f32_e32 v3, v4, v3
	v_mul_f32_e32 v4, v6, v3
	s_delay_alu instid0(VALU_DEP_1) | instskip(NEXT) | instid1(VALU_DEP_1)
	v_fma_f32 v7, -v2, v4, v6
	v_fmac_f32_e32 v4, v7, v3
	s_delay_alu instid0(VALU_DEP_1) | instskip(NEXT) | instid1(VALU_DEP_1)
	v_fma_f32 v2, -v2, v4, v6
	v_div_fmas_f32 v2, v2, v3, v4
	s_delay_alu instid0(VALU_DEP_1) | instskip(SKIP_1) | instid1(VALU_DEP_1)
	v_div_fixup_f32 v0, v2, v0, 1.0
	s_waitcnt lgkmcnt(0)
	v_mul_f32_e32 v0, v1, v0
	global_store_b32 v5, v0, s[0:1]
	s_nop 0
	s_sendmsg sendmsg(MSG_DEALLOC_VGPRS)
	s_endpgm
	.section	.rodata,"a",@progbits
	.p2align	6, 0x0
	.amdhsa_kernel _ZL12soft_max_f32ILb1ELi128ELi128EfEvPKfPKT2_S1_Pf15soft_max_params
		.amdhsa_group_segment_fixed_size 0
		.amdhsa_private_segment_fixed_size 0
		.amdhsa_kernarg_size 416
		.amdhsa_user_sgpr_count 13
		.amdhsa_user_sgpr_dispatch_ptr 0
		.amdhsa_user_sgpr_queue_ptr 0
		.amdhsa_user_sgpr_kernarg_segment_ptr 1
		.amdhsa_user_sgpr_dispatch_id 0
		.amdhsa_user_sgpr_private_segment_size 0
		.amdhsa_wavefront_size32 1
		.amdhsa_uses_dynamic_stack 0
		.amdhsa_enable_private_segment 0
		.amdhsa_system_sgpr_workgroup_id_x 1
		.amdhsa_system_sgpr_workgroup_id_y 1
		.amdhsa_system_sgpr_workgroup_id_z 1
		.amdhsa_system_sgpr_workgroup_info 0
		.amdhsa_system_vgpr_workitem_id 0
		.amdhsa_next_free_vgpr 19
		.amdhsa_next_free_sgpr 28
		.amdhsa_reserve_vcc 1
		.amdhsa_float_round_mode_32 0
		.amdhsa_float_round_mode_16_64 0
		.amdhsa_float_denorm_mode_32 3
		.amdhsa_float_denorm_mode_16_64 3
		.amdhsa_dx10_clamp 1
		.amdhsa_ieee_mode 1
		.amdhsa_fp16_overflow 0
		.amdhsa_workgroup_processor_mode 1
		.amdhsa_memory_ordered 1
		.amdhsa_forward_progress 0
		.amdhsa_shared_vgpr_count 0
		.amdhsa_exception_fp_ieee_invalid_op 0
		.amdhsa_exception_fp_denorm_src 0
		.amdhsa_exception_fp_ieee_div_zero 0
		.amdhsa_exception_fp_ieee_overflow 0
		.amdhsa_exception_fp_ieee_underflow 0
		.amdhsa_exception_fp_ieee_inexact 0
		.amdhsa_exception_int_div_zero 0
	.end_amdhsa_kernel
	.section	.text._ZL12soft_max_f32ILb1ELi128ELi128EfEvPKfPKT2_S1_Pf15soft_max_params,"axG",@progbits,_ZL12soft_max_f32ILb1ELi128ELi128EfEvPKfPKT2_S1_Pf15soft_max_params,comdat
.Lfunc_end19:
	.size	_ZL12soft_max_f32ILb1ELi128ELi128EfEvPKfPKT2_S1_Pf15soft_max_params, .Lfunc_end19-_ZL12soft_max_f32ILb1ELi128ELi128EfEvPKfPKT2_S1_Pf15soft_max_params
                                        ; -- End function
	.section	.AMDGPU.csdata,"",@progbits
; Kernel info:
; codeLenInByte = 4296
; NumSgprs: 30
; NumVgprs: 19
; ScratchSize: 0
; MemoryBound: 0
; FloatMode: 240
; IeeeMode: 1
; LDSByteSize: 0 bytes/workgroup (compile time only)
; SGPRBlocks: 3
; VGPRBlocks: 2
; NumSGPRsForWavesPerEU: 30
; NumVGPRsForWavesPerEU: 19
; Occupancy: 16
; WaveLimiterHint : 1
; COMPUTE_PGM_RSRC2:SCRATCH_EN: 0
; COMPUTE_PGM_RSRC2:USER_SGPR: 13
; COMPUTE_PGM_RSRC2:TRAP_HANDLER: 0
; COMPUTE_PGM_RSRC2:TGID_X_EN: 1
; COMPUTE_PGM_RSRC2:TGID_Y_EN: 1
; COMPUTE_PGM_RSRC2:TGID_Z_EN: 1
; COMPUTE_PGM_RSRC2:TIDIG_COMP_CNT: 0
	.section	.text._ZL12soft_max_f32ILb1ELi64ELi64EfEvPKfPKT2_S1_Pf15soft_max_params,"axG",@progbits,_ZL12soft_max_f32ILb1ELi64ELi64EfEvPKfPKT2_S1_Pf15soft_max_params,comdat
	.globl	_ZL12soft_max_f32ILb1ELi64ELi64EfEvPKfPKT2_S1_Pf15soft_max_params ; -- Begin function _ZL12soft_max_f32ILb1ELi64ELi64EfEvPKfPKT2_S1_Pf15soft_max_params
	.p2align	8
	.type	_ZL12soft_max_f32ILb1ELi64ELi64EfEvPKfPKT2_S1_Pf15soft_max_params,@function
_ZL12soft_max_f32ILb1ELi64ELi64EfEvPKfPKT2_S1_Pf15soft_max_params: ; @_ZL12soft_max_f32ILb1ELi64ELi64EfEvPKfPKT2_S1_Pf15soft_max_params
; %bb.0:
	s_clause 0x1
	s_load_b256 s[16:23], s[0:1], 0x68
	s_load_b64 s[4:5], s[0:1], 0x88
	s_mov_b32 s2, s15
	s_mov_b32 s15, 0
	s_delay_alu instid0(SALU_CYCLE_1) | instskip(SKIP_2) | instid1(SALU_CYCLE_1)
	s_mov_b32 s6, s15
	s_waitcnt lgkmcnt(0)
	s_mov_b32 s7, s23
	s_cmp_lg_u64 s[6:7], 0
	s_cbranch_scc0 .LBB20_10
; %bb.1:
	s_ashr_i32 s6, s23, 31
	s_delay_alu instid0(SALU_CYCLE_1) | instskip(SKIP_2) | instid1(SALU_CYCLE_1)
	s_add_u32 s8, s22, s6
	s_mov_b32 s7, s6
	s_addc_u32 s9, s23, s6
	s_xor_b64 s[6:7], s[8:9], s[6:7]
	s_delay_alu instid0(SALU_CYCLE_1) | instskip(SKIP_3) | instid1(VALU_DEP_1)
	v_cvt_f32_u32_e32 v1, s6
	v_cvt_f32_u32_e32 v2, s7
	s_sub_u32 s9, 0, s6
	s_subb_u32 s10, 0, s7
	v_fmamk_f32 v1, v2, 0x4f800000, v1
	s_delay_alu instid0(VALU_DEP_1) | instskip(SKIP_2) | instid1(VALU_DEP_1)
	v_rcp_f32_e32 v1, v1
	s_waitcnt_depctr 0xfff
	v_mul_f32_e32 v1, 0x5f7ffffc, v1
	v_mul_f32_e32 v2, 0x2f800000, v1
	s_delay_alu instid0(VALU_DEP_1) | instskip(NEXT) | instid1(VALU_DEP_1)
	v_trunc_f32_e32 v2, v2
	v_fmamk_f32 v1, v2, 0xcf800000, v1
	v_cvt_u32_f32_e32 v2, v2
	s_delay_alu instid0(VALU_DEP_2) | instskip(NEXT) | instid1(VALU_DEP_2)
	v_cvt_u32_f32_e32 v1, v1
	v_readfirstlane_b32 s3, v2
	s_delay_alu instid0(VALU_DEP_2) | instskip(NEXT) | instid1(VALU_DEP_2)
	v_readfirstlane_b32 s8, v1
	s_mul_i32 s11, s9, s3
	s_delay_alu instid0(VALU_DEP_1)
	s_mul_hi_u32 s23, s9, s8
	s_mul_i32 s12, s10, s8
	s_add_i32 s11, s23, s11
	s_mul_i32 s24, s9, s8
	s_add_i32 s11, s11, s12
	s_mul_hi_u32 s23, s8, s24
	s_mul_hi_u32 s25, s3, s24
	s_mul_i32 s12, s3, s24
	s_mul_hi_u32 s24, s8, s11
	s_mul_i32 s8, s8, s11
	s_mul_hi_u32 s26, s3, s11
	s_add_u32 s8, s23, s8
	s_addc_u32 s23, 0, s24
	s_add_u32 s8, s8, s12
	s_mul_i32 s11, s3, s11
	s_addc_u32 s8, s23, s25
	s_addc_u32 s12, s26, 0
	s_add_u32 s8, s8, s11
	s_addc_u32 s11, 0, s12
	v_add_co_u32 v1, s8, v1, s8
	s_delay_alu instid0(VALU_DEP_1) | instskip(SKIP_1) | instid1(VALU_DEP_1)
	s_cmp_lg_u32 s8, 0
	s_addc_u32 s3, s3, s11
	v_readfirstlane_b32 s8, v1
	s_mul_i32 s11, s9, s3
	s_delay_alu instid0(VALU_DEP_1)
	s_mul_hi_u32 s12, s9, s8
	s_mul_i32 s10, s10, s8
	s_add_i32 s11, s12, s11
	s_mul_i32 s9, s9, s8
	s_add_i32 s11, s11, s10
	s_mul_hi_u32 s12, s3, s9
	s_mul_i32 s23, s3, s9
	s_mul_hi_u32 s9, s8, s9
	s_mul_hi_u32 s24, s8, s11
	s_mul_i32 s8, s8, s11
	s_mul_hi_u32 s10, s3, s11
	s_add_u32 s8, s9, s8
	s_addc_u32 s9, 0, s24
	s_add_u32 s8, s8, s23
	s_mul_i32 s11, s3, s11
	s_addc_u32 s8, s9, s12
	s_addc_u32 s9, s10, 0
	s_add_u32 s8, s8, s11
	s_addc_u32 s9, 0, s9
	v_add_co_u32 v1, s8, v1, s8
	s_delay_alu instid0(VALU_DEP_1) | instskip(SKIP_1) | instid1(VALU_DEP_1)
	s_cmp_lg_u32 s8, 0
	s_addc_u32 s3, s3, s9
	v_readfirstlane_b32 s8, v1
	s_mul_i32 s9, s14, s3
	s_mul_hi_u32 s3, s14, s3
	s_delay_alu instid0(VALU_DEP_1) | instskip(NEXT) | instid1(SALU_CYCLE_1)
	s_mul_hi_u32 s8, s14, s8
	s_add_u32 s8, s8, s9
	s_addc_u32 s3, 0, s3
	s_add_u32 s8, s8, 0
	s_addc_u32 s3, s3, 0
	s_addc_u32 s8, 0, 0
	s_add_u32 s3, s3, 0
	s_addc_u32 s8, 0, s8
	s_mul_hi_u32 s9, s6, s3
	s_mul_i32 s8, s6, s8
	s_mul_i32 s10, s7, s3
	;; [unrolled: 1-line block ×3, first 2 shown]
	s_add_i32 s8, s9, s8
	v_sub_co_u32 v1, s3, s14, s3
	s_add_i32 s8, s8, s10
	s_delay_alu instid0(SALU_CYCLE_1) | instskip(SKIP_1) | instid1(VALU_DEP_1)
	s_sub_i32 s9, 0, s8
	s_cmp_lg_u32 s3, 0
	v_sub_co_u32 v2, s10, v1, s6
	s_subb_u32 s9, s9, s7
	s_cmp_lg_u32 s10, 0
	s_subb_u32 s11, s9, 0
	s_delay_alu instid0(VALU_DEP_1)
	v_cmp_le_u32_e32 vcc_lo, s6, v2
	s_cmp_ge_u32 s11, s7
	s_cselect_b32 s12, -1, 0
	s_cmp_eq_u32 s11, s7
	v_cndmask_b32_e64 v3, 0, -1, vcc_lo
	s_cselect_b32 vcc_lo, -1, 0
	s_cmp_lg_u32 s10, 0
	v_sub_co_u32 v4, s10, v2, s6
	s_subb_u32 s9, s9, s7
	s_cmp_lg_u32 s10, 0
	v_cndmask_b32_e32 v3, s12, v3, vcc_lo
	s_subb_u32 s9, s9, 0
	s_cmp_lg_u32 s3, 0
	v_cmp_le_u32_e32 vcc_lo, s6, v1
	s_subb_u32 s8, 0, s8
	s_delay_alu instid0(SALU_CYCLE_1)
	s_cmp_ge_u32 s8, s7
	v_cndmask_b32_e64 v5, 0, -1, vcc_lo
	s_cselect_b32 s6, -1, 0
	s_cmp_eq_u32 s8, s7
	v_cmp_ne_u32_e32 vcc_lo, 0, v3
	v_mov_b32_e32 v3, s9
	s_cselect_b32 s3, -1, 0
	s_delay_alu instid0(SALU_CYCLE_1) | instskip(SKIP_1) | instid1(VALU_DEP_3)
	v_cndmask_b32_e64 v5, s6, v5, s3
	v_cndmask_b32_e32 v2, v2, v4, vcc_lo
	v_cndmask_b32_e32 v3, s11, v3, vcc_lo
	s_mov_b32 s3, s15
	s_delay_alu instid0(VALU_DEP_3) | instskip(NEXT) | instid1(VALU_DEP_3)
	v_cmp_ne_u32_e32 vcc_lo, 0, v5
	v_cndmask_b32_e32 v1, v1, v2, vcc_lo
	s_delay_alu instid0(VALU_DEP_3) | instskip(NEXT) | instid1(VALU_DEP_2)
	v_cndmask_b32_e32 v3, s8, v3, vcc_lo
	v_sub_co_u32 v1, vcc_lo, v1, 0
	s_delay_alu instid0(VALU_DEP_2)
	v_subrev_co_ci_u32_e32 v2, vcc_lo, 0, v3, vcc_lo
	s_and_not1_b32 vcc_lo, exec_lo, s3
	s_cbranch_vccnz .LBB20_3
.LBB20_2:
	v_cvt_f32_u32_e32 v1, s22
	s_mov_b32 s7, 0
	s_sub_i32 s6, 0, s22
	s_delay_alu instid0(VALU_DEP_1) | instskip(SKIP_2) | instid1(VALU_DEP_1)
	v_rcp_iflag_f32_e32 v1, v1
	s_waitcnt_depctr 0xfff
	v_mul_f32_e32 v1, 0x4f7ffffe, v1
	v_cvt_u32_f32_e32 v1, v1
	s_delay_alu instid0(VALU_DEP_1) | instskip(NEXT) | instid1(VALU_DEP_1)
	v_readfirstlane_b32 s3, v1
	s_mul_i32 s6, s6, s3
	s_delay_alu instid0(SALU_CYCLE_1) | instskip(NEXT) | instid1(SALU_CYCLE_1)
	s_mul_hi_u32 s6, s3, s6
	s_add_i32 s3, s3, s6
	s_delay_alu instid0(SALU_CYCLE_1) | instskip(NEXT) | instid1(SALU_CYCLE_1)
	s_mul_hi_u32 s3, s14, s3
	s_mul_i32 s3, s3, s22
	s_delay_alu instid0(SALU_CYCLE_1) | instskip(NEXT) | instid1(SALU_CYCLE_1)
	s_sub_i32 s3, s14, s3
	s_sub_i32 s6, s3, s22
	s_cmp_ge_u32 s3, s22
	s_cselect_b32 s3, s6, s3
	s_delay_alu instid0(SALU_CYCLE_1) | instskip(SKIP_2) | instid1(SALU_CYCLE_1)
	s_sub_i32 s6, s3, s22
	s_cmp_ge_u32 s3, s22
	s_cselect_b32 s6, s6, s3
	v_dual_mov_b32 v1, s6 :: v_dual_mov_b32 v2, s7
.LBB20_3:
	s_load_b64 s[22:23], s[0:1], 0x90
	s_mov_b32 s6, 0
	s_mov_b32 s7, s5
	s_delay_alu instid0(SALU_CYCLE_1)
	s_cmp_lg_u64 s[6:7], 0
	s_cbranch_scc0 .LBB20_11
; %bb.4:
	s_ashr_i32 s8, s5, 31
	s_delay_alu instid0(SALU_CYCLE_1) | instskip(SKIP_2) | instid1(SALU_CYCLE_1)
	s_add_u32 s10, s4, s8
	s_mov_b32 s9, s8
	s_addc_u32 s11, s5, s8
	s_xor_b64 s[8:9], s[10:11], s[8:9]
	s_delay_alu instid0(SALU_CYCLE_1) | instskip(SKIP_3) | instid1(VALU_DEP_1)
	v_cvt_f32_u32_e32 v3, s8
	v_cvt_f32_u32_e32 v4, s9
	s_sub_u32 s7, 0, s8
	s_subb_u32 s10, 0, s9
	v_fmamk_f32 v3, v4, 0x4f800000, v3
	s_delay_alu instid0(VALU_DEP_1) | instskip(SKIP_2) | instid1(VALU_DEP_1)
	v_rcp_f32_e32 v3, v3
	s_waitcnt_depctr 0xfff
	v_mul_f32_e32 v3, 0x5f7ffffc, v3
	v_mul_f32_e32 v4, 0x2f800000, v3
	s_delay_alu instid0(VALU_DEP_1) | instskip(NEXT) | instid1(VALU_DEP_1)
	v_trunc_f32_e32 v4, v4
	v_fmamk_f32 v3, v4, 0xcf800000, v3
	v_cvt_u32_f32_e32 v4, v4
	s_delay_alu instid0(VALU_DEP_2) | instskip(NEXT) | instid1(VALU_DEP_2)
	v_cvt_u32_f32_e32 v3, v3
	v_readfirstlane_b32 s3, v4
	s_delay_alu instid0(VALU_DEP_2) | instskip(NEXT) | instid1(VALU_DEP_2)
	v_readfirstlane_b32 s5, v3
	s_mul_i32 s11, s7, s3
	s_delay_alu instid0(VALU_DEP_1)
	s_mul_hi_u32 s24, s7, s5
	s_mul_i32 s12, s10, s5
	s_add_i32 s11, s24, s11
	s_mul_i32 s25, s7, s5
	s_add_i32 s11, s11, s12
	s_mul_hi_u32 s24, s5, s25
	s_mul_hi_u32 s26, s3, s25
	s_mul_i32 s12, s3, s25
	s_mul_hi_u32 s25, s5, s11
	s_mul_i32 s5, s5, s11
	s_mul_hi_u32 s27, s3, s11
	s_add_u32 s5, s24, s5
	s_addc_u32 s24, 0, s25
	s_add_u32 s5, s5, s12
	s_mul_i32 s11, s3, s11
	s_addc_u32 s5, s24, s26
	s_addc_u32 s12, s27, 0
	s_add_u32 s5, s5, s11
	s_addc_u32 s11, 0, s12
	v_add_co_u32 v3, s5, v3, s5
	s_delay_alu instid0(VALU_DEP_1) | instskip(SKIP_1) | instid1(VALU_DEP_1)
	s_cmp_lg_u32 s5, 0
	s_addc_u32 s3, s3, s11
	v_readfirstlane_b32 s5, v3
	s_mul_i32 s11, s7, s3
	s_delay_alu instid0(VALU_DEP_1)
	s_mul_hi_u32 s12, s7, s5
	s_mul_i32 s10, s10, s5
	s_add_i32 s11, s12, s11
	s_mul_i32 s7, s7, s5
	s_add_i32 s11, s11, s10
	s_mul_hi_u32 s12, s3, s7
	s_mul_i32 s24, s3, s7
	s_mul_hi_u32 s7, s5, s7
	s_mul_hi_u32 s25, s5, s11
	s_mul_i32 s5, s5, s11
	s_mul_hi_u32 s10, s3, s11
	s_add_u32 s5, s7, s5
	s_addc_u32 s7, 0, s25
	s_add_u32 s5, s5, s24
	s_mul_i32 s11, s3, s11
	s_addc_u32 s5, s7, s12
	s_addc_u32 s7, s10, 0
	s_add_u32 s5, s5, s11
	s_addc_u32 s7, 0, s7
	v_add_co_u32 v3, s5, v3, s5
	s_delay_alu instid0(VALU_DEP_1) | instskip(SKIP_1) | instid1(VALU_DEP_1)
	s_cmp_lg_u32 s5, 0
	s_addc_u32 s3, s3, s7
	v_readfirstlane_b32 s5, v3
	s_mul_i32 s7, s2, s3
	s_mul_hi_u32 s3, s2, s3
	s_delay_alu instid0(VALU_DEP_1) | instskip(NEXT) | instid1(SALU_CYCLE_1)
	s_mul_hi_u32 s5, s2, s5
	s_add_u32 s5, s5, s7
	s_addc_u32 s3, 0, s3
	s_add_u32 s5, s5, 0
	s_addc_u32 s3, s3, 0
	s_addc_u32 s5, 0, 0
	s_add_u32 s3, s3, 0
	s_addc_u32 s5, 0, s5
	s_mul_hi_u32 s7, s8, s3
	s_mul_i32 s5, s8, s5
	s_mul_i32 s10, s9, s3
	;; [unrolled: 1-line block ×3, first 2 shown]
	s_add_i32 s5, s7, s5
	v_sub_co_u32 v3, s3, s2, s3
	s_add_i32 s5, s5, s10
	s_delay_alu instid0(SALU_CYCLE_1) | instskip(SKIP_1) | instid1(VALU_DEP_1)
	s_sub_i32 s7, 0, s5
	s_cmp_lg_u32 s3, 0
	v_sub_co_u32 v4, s10, v3, s8
	s_subb_u32 s7, s7, s9
	s_cmp_lg_u32 s10, 0
	s_subb_u32 s11, s7, 0
	s_delay_alu instid0(VALU_DEP_1)
	v_cmp_le_u32_e32 vcc_lo, s8, v4
	s_cmp_ge_u32 s11, s9
	s_cselect_b32 s12, -1, 0
	s_cmp_eq_u32 s11, s9
	v_cndmask_b32_e64 v5, 0, -1, vcc_lo
	s_cselect_b32 vcc_lo, -1, 0
	s_cmp_lg_u32 s10, 0
	v_sub_co_u32 v6, s10, v4, s8
	s_subb_u32 s7, s7, s9
	s_cmp_lg_u32 s10, 0
	v_cndmask_b32_e32 v5, s12, v5, vcc_lo
	s_subb_u32 s7, s7, 0
	s_cmp_lg_u32 s3, 0
	v_cmp_le_u32_e32 vcc_lo, s8, v3
	s_subb_u32 s5, 0, s5
	s_delay_alu instid0(SALU_CYCLE_1)
	s_cmp_ge_u32 s5, s9
	v_cndmask_b32_e64 v7, 0, -1, vcc_lo
	s_cselect_b32 s8, -1, 0
	s_cmp_eq_u32 s5, s9
	v_cmp_ne_u32_e32 vcc_lo, 0, v5
	v_mov_b32_e32 v5, s7
	s_cselect_b32 s3, -1, 0
	s_delay_alu instid0(SALU_CYCLE_1) | instskip(SKIP_1) | instid1(VALU_DEP_3)
	v_cndmask_b32_e64 v7, s8, v7, s3
	v_cndmask_b32_e32 v4, v4, v6, vcc_lo
	v_cndmask_b32_e32 v5, s11, v5, vcc_lo
	s_delay_alu instid0(VALU_DEP_3) | instskip(NEXT) | instid1(VALU_DEP_3)
	v_cmp_ne_u32_e32 vcc_lo, 0, v7
	v_cndmask_b32_e32 v3, v3, v4, vcc_lo
	s_delay_alu instid0(VALU_DEP_3) | instskip(NEXT) | instid1(VALU_DEP_2)
	v_cndmask_b32_e32 v5, s5, v5, vcc_lo
	v_sub_co_u32 v3, vcc_lo, v3, 0
	s_delay_alu instid0(VALU_DEP_2)
	v_subrev_co_ci_u32_e32 v4, vcc_lo, 0, v5, vcc_lo
	s_and_not1_b32 vcc_lo, exec_lo, s6
	s_cbranch_vccnz .LBB20_6
.LBB20_5:
	v_cvt_f32_u32_e32 v3, s4
	s_sub_i32 s5, 0, s4
	s_delay_alu instid0(VALU_DEP_1) | instskip(SKIP_2) | instid1(VALU_DEP_1)
	v_rcp_iflag_f32_e32 v3, v3
	s_waitcnt_depctr 0xfff
	v_mul_f32_e32 v3, 0x4f7ffffe, v3
	v_cvt_u32_f32_e32 v3, v3
	s_delay_alu instid0(VALU_DEP_1) | instskip(NEXT) | instid1(VALU_DEP_1)
	v_readfirstlane_b32 s3, v3
	s_mul_i32 s5, s5, s3
	s_delay_alu instid0(SALU_CYCLE_1) | instskip(NEXT) | instid1(SALU_CYCLE_1)
	s_mul_hi_u32 s5, s3, s5
	s_add_i32 s3, s3, s5
	s_delay_alu instid0(SALU_CYCLE_1) | instskip(NEXT) | instid1(SALU_CYCLE_1)
	s_mul_hi_u32 s3, s2, s3
	s_mul_i32 s3, s3, s4
	s_delay_alu instid0(SALU_CYCLE_1) | instskip(NEXT) | instid1(SALU_CYCLE_1)
	s_sub_i32 s3, s2, s3
	s_sub_i32 s5, s3, s4
	s_cmp_ge_u32 s3, s4
	s_cselect_b32 s3, s5, s3
	s_mov_b32 s5, 0
	s_sub_i32 s6, s3, s4
	s_cmp_ge_u32 s3, s4
	s_cselect_b32 s4, s6, s3
	s_delay_alu instid0(SALU_CYCLE_1)
	v_dual_mov_b32 v3, s4 :: v_dual_mov_b32 v4, s5
.LBB20_6:
	s_load_b64 s[24:25], s[0:1], 0xa0
	s_waitcnt lgkmcnt(0)
	v_cmp_le_f32_e64 s3, s23, 0
	v_mov_b32_e32 v6, 1.0
	s_delay_alu instid0(VALU_DEP_2)
	s_and_b32 vcc_lo, exec_lo, s3
	s_cbranch_vccnz .LBB20_8
; %bb.7:
	s_clause 0x1
	s_load_b32 s3, s[0:1], 0x28
	s_load_b64 s[4:5], s[0:1], 0x98
	s_add_i32 s7, s14, 1
	s_waitcnt lgkmcnt(0)
	s_sub_i32 s6, s14, s3
	v_mov_b32_e32 v5, s4
	s_lshl_b32 s6, s6, 1
	s_delay_alu instid0(SALU_CYCLE_1)
	s_or_b32 s4, s6, 1
	s_cmp_lt_u32 s14, s3
	s_cselect_b32 vcc_lo, -1, 0
	v_cndmask_b32_e32 v7, s5, v5, vcc_lo
	s_and_b32 s3, vcc_lo, exec_lo
	s_cselect_b32 s3, s7, s4
	s_mov_b32 s4, 0x3e76c4e1
	v_cvt_f32_i32_e32 v5, s3
	v_cmp_neq_f32_e32 vcc_lo, 1.0, v7
	s_delay_alu instid0(VALU_DEP_2) | instskip(NEXT) | instid1(VALU_DEP_1)
	v_cndmask_b32_e32 v8, 1.0, v5, vcc_lo
	v_cmp_eq_f32_e32 vcc_lo, 0, v8
	v_cndmask_b32_e64 v9, |v7|, 1.0, vcc_lo
	s_delay_alu instid0(VALU_DEP_1) | instskip(NEXT) | instid1(VALU_DEP_1)
	v_frexp_mant_f32_e32 v5, v9
	v_cmp_gt_f32_e64 s3, 0x3f2aaaab, v5
	s_delay_alu instid0(VALU_DEP_1) | instskip(NEXT) | instid1(VALU_DEP_1)
	v_cndmask_b32_e64 v6, 1.0, 2.0, s3
	v_mul_f32_e32 v5, v5, v6
	s_delay_alu instid0(VALU_DEP_1) | instskip(SKIP_1) | instid1(VALU_DEP_2)
	v_add_f32_e32 v6, 1.0, v5
	v_add_f32_e32 v11, -1.0, v5
	v_rcp_f32_e32 v10, v6
	s_waitcnt_depctr 0xfff
	v_mul_f32_e32 v12, v11, v10
	s_delay_alu instid0(VALU_DEP_1) | instskip(NEXT) | instid1(VALU_DEP_1)
	v_dual_add_f32 v13, -1.0, v6 :: v_dual_mul_f32 v14, v6, v12
	v_sub_f32_e32 v5, v5, v13
	v_cndmask_b32_e64 v7, v7, 1.0, vcc_lo
	s_delay_alu instid0(VALU_DEP_3) | instskip(NEXT) | instid1(VALU_DEP_2)
	v_fma_f32 v6, v12, v6, -v14
	v_cmp_eq_f32_e64 s5, 0, v7
	s_delay_alu instid0(VALU_DEP_2) | instskip(NEXT) | instid1(VALU_DEP_1)
	v_fmac_f32_e32 v6, v12, v5
	v_add_f32_e32 v5, v14, v6
	s_delay_alu instid0(VALU_DEP_1) | instskip(NEXT) | instid1(VALU_DEP_1)
	v_dual_sub_f32 v14, v5, v14 :: v_dual_sub_f32 v13, v11, v5
	v_dual_sub_f32 v6, v14, v6 :: v_dual_sub_f32 v11, v11, v13
	s_delay_alu instid0(VALU_DEP_1) | instskip(NEXT) | instid1(VALU_DEP_1)
	v_sub_f32_e32 v5, v11, v5
	v_add_f32_e32 v5, v6, v5
	s_delay_alu instid0(VALU_DEP_1) | instskip(NEXT) | instid1(VALU_DEP_1)
	v_add_f32_e32 v5, v13, v5
	v_mul_f32_e32 v5, v10, v5
	s_delay_alu instid0(VALU_DEP_1) | instskip(NEXT) | instid1(VALU_DEP_1)
	v_add_f32_e32 v10, v12, v5
	v_sub_f32_e32 v6, v10, v12
	v_mul_f32_e32 v11, v10, v10
	s_delay_alu instid0(VALU_DEP_2) | instskip(NEXT) | instid1(VALU_DEP_2)
	v_sub_f32_e32 v12, v5, v6
	v_fma_f32 v13, v10, v10, -v11
	s_delay_alu instid0(VALU_DEP_2) | instskip(NEXT) | instid1(VALU_DEP_1)
	v_add_f32_e32 v5, v12, v12
	v_fmac_f32_e32 v13, v10, v5
	v_cvt_f64_f32_e32 v[5:6], v9
	s_delay_alu instid0(VALU_DEP_2) | instskip(NEXT) | instid1(VALU_DEP_1)
	v_add_f32_e32 v14, v11, v13
	v_fmaak_f32 v15, s4, v14, 0x3e91f4c4
	v_sub_f32_e32 v11, v14, v11
	v_mul_f32_e32 v18, v10, v14
	s_delay_alu instid0(VALU_DEP_3) | instskip(NEXT) | instid1(VALU_DEP_3)
	v_fmaak_f32 v15, v14, v15, 0x3ecccdef
	v_sub_f32_e32 v11, v13, v11
	s_delay_alu instid0(VALU_DEP_2) | instskip(NEXT) | instid1(VALU_DEP_1)
	v_mul_f32_e32 v16, v14, v15
	v_fma_f32 v13, v14, v15, -v16
	s_delay_alu instid0(VALU_DEP_1) | instskip(NEXT) | instid1(VALU_DEP_1)
	v_fmac_f32_e32 v13, v11, v15
	v_add_f32_e32 v15, v16, v13
	v_frexp_exp_i32_f64_e32 v5, v[5:6]
	s_delay_alu instid0(VALU_DEP_2) | instskip(NEXT) | instid1(VALU_DEP_1)
	v_sub_f32_e32 v16, v15, v16
	v_sub_f32_e32 v6, v13, v16
	v_fma_f32 v16, v14, v10, -v18
	s_delay_alu instid0(VALU_DEP_2) | instskip(NEXT) | instid1(VALU_DEP_2)
	v_add_f32_e32 v6, 0x31739010, v6
	v_dual_add_f32 v17, 0x3f2aaaaa, v15 :: v_dual_fmac_f32 v16, v14, v12
	v_ldexp_f32 v12, v12, 1
	s_delay_alu instid0(VALU_DEP_2) | instskip(NEXT) | instid1(VALU_DEP_1)
	v_dual_add_f32 v13, 0xbf2aaaaa, v17 :: v_dual_fmac_f32 v16, v11, v10
	v_sub_f32_e32 v13, v15, v13
	s_delay_alu instid0(VALU_DEP_1) | instskip(NEXT) | instid1(VALU_DEP_3)
	v_add_f32_e32 v6, v6, v13
	v_add_f32_e32 v13, v18, v16
	s_delay_alu instid0(VALU_DEP_2) | instskip(NEXT) | instid1(VALU_DEP_1)
	v_add_f32_e32 v11, v17, v6
	v_sub_f32_e32 v14, v17, v11
	s_delay_alu instid0(VALU_DEP_3) | instskip(SKIP_2) | instid1(VALU_DEP_4)
	v_mul_f32_e32 v15, v13, v11
	v_sub_f32_e32 v17, v13, v18
	v_subrev_co_ci_u32_e64 v5, s3, 0, v5, s3
	v_add_f32_e32 v6, v6, v14
	s_delay_alu instid0(VALU_DEP_4) | instskip(NEXT) | instid1(VALU_DEP_4)
	v_fma_f32 v14, v13, v11, -v15
	v_sub_f32_e32 v16, v16, v17
	s_delay_alu instid0(VALU_DEP_4) | instskip(NEXT) | instid1(VALU_DEP_3)
	v_cvt_f32_i32_e32 v5, v5
	v_fmac_f32_e32 v14, v13, v6
	v_ldexp_f32 v6, v10, 1
	s_delay_alu instid0(VALU_DEP_2) | instskip(NEXT) | instid1(VALU_DEP_1)
	v_fmac_f32_e32 v14, v16, v11
	v_add_f32_e32 v10, v15, v14
	s_delay_alu instid0(VALU_DEP_1) | instskip(NEXT) | instid1(VALU_DEP_1)
	v_add_f32_e32 v11, v6, v10
	v_dual_sub_f32 v6, v11, v6 :: v_dual_sub_f32 v13, v10, v15
	s_delay_alu instid0(VALU_DEP_1) | instskip(NEXT) | instid1(VALU_DEP_2)
	v_sub_f32_e32 v6, v10, v6
	v_sub_f32_e32 v13, v14, v13
	s_delay_alu instid0(VALU_DEP_1) | instskip(NEXT) | instid1(VALU_DEP_1)
	v_add_f32_e32 v10, v12, v13
	v_dual_mul_f32 v15, 0x3f317218, v5 :: v_dual_add_f32 v6, v10, v6
	s_delay_alu instid0(VALU_DEP_1) | instskip(NEXT) | instid1(VALU_DEP_2)
	v_fma_f32 v14, 0x3f317218, v5, -v15
	v_add_f32_e32 v12, v11, v6
	s_delay_alu instid0(VALU_DEP_1) | instskip(NEXT) | instid1(VALU_DEP_1)
	v_sub_f32_e32 v11, v12, v11
	v_dual_fmamk_f32 v5, v5, 0xb102e308, v14 :: v_dual_sub_f32 v6, v6, v11
	s_delay_alu instid0(VALU_DEP_1) | instskip(NEXT) | instid1(VALU_DEP_1)
	v_add_f32_e32 v10, v15, v5
	v_add_f32_e32 v13, v10, v12
	s_delay_alu instid0(VALU_DEP_1) | instskip(NEXT) | instid1(VALU_DEP_1)
	v_dual_sub_f32 v15, v10, v15 :: v_dual_sub_f32 v14, v13, v10
	v_sub_f32_e32 v16, v13, v14
	s_delay_alu instid0(VALU_DEP_2) | instskip(NEXT) | instid1(VALU_DEP_2)
	v_sub_f32_e32 v5, v5, v15
	v_dual_sub_f32 v11, v12, v14 :: v_dual_sub_f32 v10, v10, v16
	s_delay_alu instid0(VALU_DEP_2) | instskip(NEXT) | instid1(VALU_DEP_2)
	v_add_f32_e32 v12, v5, v6
	v_add_f32_e32 v10, v11, v10
	s_delay_alu instid0(VALU_DEP_1) | instskip(NEXT) | instid1(VALU_DEP_1)
	v_add_f32_e32 v10, v12, v10
	v_dual_sub_f32 v11, v12, v5 :: v_dual_add_f32 v14, v13, v10
	s_delay_alu instid0(VALU_DEP_1) | instskip(SKIP_1) | instid1(VALU_DEP_3)
	v_sub_f32_e32 v12, v12, v11
	v_sub_f32_e32 v6, v6, v11
	;; [unrolled: 1-line block ×3, first 2 shown]
	s_delay_alu instid0(VALU_DEP_3) | instskip(NEXT) | instid1(VALU_DEP_1)
	v_sub_f32_e32 v5, v5, v12
	v_add_f32_e32 v5, v6, v5
	s_delay_alu instid0(VALU_DEP_3) | instskip(NEXT) | instid1(VALU_DEP_1)
	v_sub_f32_e32 v6, v10, v11
	v_add_f32_e32 v5, v5, v6
	s_delay_alu instid0(VALU_DEP_1) | instskip(NEXT) | instid1(VALU_DEP_1)
	v_add_f32_e32 v6, v14, v5
	v_mul_f32_e32 v11, v8, v6
	v_sub_f32_e32 v10, v6, v14
	s_delay_alu instid0(VALU_DEP_2) | instskip(NEXT) | instid1(VALU_DEP_2)
	v_fma_f32 v6, v8, v6, -v11
	v_sub_f32_e32 v5, v5, v10
	v_cmp_class_f32_e64 s3, v11, 0x204
	s_delay_alu instid0(VALU_DEP_2) | instskip(NEXT) | instid1(VALU_DEP_1)
	v_fmac_f32_e32 v6, v8, v5
	v_add_f32_e32 v5, v11, v6
	s_delay_alu instid0(VALU_DEP_1) | instskip(NEXT) | instid1(VALU_DEP_1)
	v_cndmask_b32_e64 v10, v5, v11, s3
	v_cmp_eq_f32_e64 s3, 0x42b17218, v10
	s_delay_alu instid0(VALU_DEP_1) | instskip(SKIP_1) | instid1(VALU_DEP_2)
	v_cndmask_b32_e64 v12, 0, 0x37000000, s3
	v_cmp_neq_f32_e64 s3, 0x7f800000, |v10|
	v_sub_f32_e32 v13, v10, v12
	v_trunc_f32_e32 v10, v8
	s_delay_alu instid0(VALU_DEP_2) | instskip(NEXT) | instid1(VALU_DEP_1)
	v_mul_f32_e32 v14, 0x3fb8aa3b, v13
	v_fma_f32 v15, 0x3fb8aa3b, v13, -v14
	v_rndne_f32_e32 v16, v14
	s_delay_alu instid0(VALU_DEP_1) | instskip(NEXT) | instid1(VALU_DEP_1)
	v_dual_fmamk_f32 v15, v13, 0x32a5705f, v15 :: v_dual_sub_f32 v14, v14, v16
	v_add_f32_e32 v14, v14, v15
	v_sub_f32_e32 v5, v5, v11
	v_cvt_i32_f32_e32 v11, v16
	s_delay_alu instid0(VALU_DEP_3) | instskip(NEXT) | instid1(VALU_DEP_2)
	v_exp_f32_e32 v14, v14
	v_sub_f32_e32 v5, v6, v5
	s_delay_alu instid0(VALU_DEP_1)
	v_cndmask_b32_e64 v5, 0, v5, s3
	v_cmp_ngt_f32_e64 s3, 0xc2ce8ed0, v13
	s_waitcnt_depctr 0xfff
	v_ldexp_f32 v6, v14, v11
	v_mul_f32_e32 v11, 0.5, v8
	v_add_f32_e32 v5, v12, v5
	s_delay_alu instid0(VALU_DEP_3) | instskip(NEXT) | instid1(VALU_DEP_3)
	v_cndmask_b32_e64 v6, 0, v6, s3
	v_trunc_f32_e32 v14, v11
	v_cmp_nlt_f32_e64 s3, 0x42b17218, v13
	s_delay_alu instid0(VALU_DEP_2) | instskip(NEXT) | instid1(VALU_DEP_2)
	v_cmp_neq_f32_e64 s4, v14, v11
	v_cndmask_b32_e64 v6, 0x7f800000, v6, s3
	v_cmp_eq_f32_e64 s3, v10, v8
	s_delay_alu instid0(VALU_DEP_2) | instskip(NEXT) | instid1(VALU_DEP_2)
	v_fma_f32 v5, v6, v5, v6
	s_and_b32 vcc_lo, s3, s4
	v_cmp_class_f32_e64 s4, v6, 0x204
	v_cndmask_b32_e32 v10, 1.0, v7, vcc_lo
	s_delay_alu instid0(VALU_DEP_2) | instskip(SKIP_1) | instid1(VALU_DEP_2)
	v_cndmask_b32_e64 v5, v5, v6, s4
	v_cmp_gt_f32_e64 s4, 0, v8
	v_bfi_b32 v5, 0x7fffffff, v5, v10
	s_delay_alu instid0(VALU_DEP_2)
	s_xor_b32 s4, s4, s5
	v_cndmask_b32_e32 v10, 0, v7, vcc_lo
	v_cndmask_b32_e64 v6, 0x7f800000, 0, s4
	v_cmp_eq_f32_e32 vcc_lo, 0x7f800000, v9
	v_cndmask_b32_e64 v8, 0x7fc00000, v5, s3
	v_cmp_gt_f32_e64 s3, 0, v7
	s_delay_alu instid0(VALU_DEP_4) | instskip(SKIP_1) | instid1(VALU_DEP_2)
	v_bfi_b32 v6, 0x7fffffff, v6, v10
	s_or_b32 vcc_lo, vcc_lo, s5
	v_cndmask_b32_e64 v5, v5, v8, s3
	s_delay_alu instid0(VALU_DEP_1) | instskip(SKIP_1) | instid1(VALU_DEP_2)
	v_cndmask_b32_e32 v5, v5, v6, vcc_lo
	v_cmp_o_f32_e32 vcc_lo, v7, v7
	v_cndmask_b32_e32 v6, 0x7fc00000, v5, vcc_lo
.LBB20_8:
	s_load_b256 s[4:11], s[0:1], 0x0
	s_waitcnt lgkmcnt(0)
	s_cmp_lg_u64 s[8:9], 0
	s_cselect_b32 s12, -1, 0
	s_cmp_eq_u64 s[8:9], 0
	s_cbranch_scc1 .LBB20_12
; %bb.9:
	s_lshl_b64 s[0:1], s[14:15], 2
	s_delay_alu instid0(SALU_CYCLE_1)
	s_add_u32 s0, s8, s0
	s_addc_u32 s1, s9, s1
	s_load_b32 s0, s[0:1], 0x0
	s_branch .LBB20_13
.LBB20_10:
                                        ; implicit-def: $vgpr1_vgpr2
	s_branch .LBB20_2
.LBB20_11:
                                        ; implicit-def: $vgpr3_vgpr4
	s_branch .LBB20_5
.LBB20_12:
	s_mov_b32 s0, 0xff800000
.LBB20_13:
	s_mul_i32 s1, s25, s2
	v_dual_mov_b32 v8, 0 :: v_dual_lshlrev_b32 v5, 2, v0
	s_add_i32 s1, s1, s14
	s_delay_alu instid0(SALU_CYCLE_1) | instskip(NEXT) | instid1(SALU_CYCLE_1)
	s_mul_i32 s1, s1, s24
	s_add_i32 s2, s1, s13
	s_delay_alu instid0(SALU_CYCLE_1) | instskip(NEXT) | instid1(SALU_CYCLE_1)
	s_ashr_i32 s3, s2, 31
	s_lshl_b64 s[24:25], s[2:3], 8
	s_delay_alu instid0(SALU_CYCLE_1)
	s_add_u32 s4, s4, s24
	s_addc_u32 s5, s5, s25
	s_cmp_eq_u64 s[6:7], 0
	global_load_b32 v7, v5, s[4:5]
	s_cselect_b32 s1, -1, 0
	s_cmp_lg_u64 s[6:7], 0
	s_cbranch_scc0 .LBB20_15
; %bb.14:
	v_mul_lo_u32 v8, v1, s19
	v_mul_hi_u32 v9, v1, s18
	v_mul_lo_u32 v10, v3, s21
	v_mul_hi_u32 v11, v3, s20
	v_mul_lo_u32 v2, v2, s18
	v_mul_lo_u32 v1, v1, s18
	;; [unrolled: 1-line block ×4, first 2 shown]
	s_mul_i32 s4, s17, s13
	v_add_nc_u32_e32 v8, v9, v8
	s_mul_hi_u32 s5, s16, s13
	v_add_nc_u32_e32 v9, v11, v10
	s_mul_i32 s13, s16, s13
	s_add_i32 s5, s5, s4
	v_add_nc_u32_e32 v2, v8, v2
	v_add_co_u32 v1, vcc_lo, v1, s13
	v_add_nc_u32_e32 v4, v9, v4
	s_delay_alu instid0(VALU_DEP_3) | instskip(NEXT) | instid1(VALU_DEP_3)
	v_add_co_ci_u32_e32 v2, vcc_lo, s5, v2, vcc_lo
	v_add_co_u32 v1, vcc_lo, v1, v3
	s_delay_alu instid0(VALU_DEP_2) | instskip(NEXT) | instid1(VALU_DEP_1)
	v_add_co_ci_u32_e32 v2, vcc_lo, v2, v4, vcc_lo
	v_lshrrev_b64 v[1:2], 2, v[1:2]
	s_delay_alu instid0(VALU_DEP_1) | instskip(NEXT) | instid1(VALU_DEP_2)
	v_cndmask_b32_e64 v2, v2, 0, s1
	v_cndmask_b32_e64 v1, v1, 0, s1
	s_delay_alu instid0(VALU_DEP_1) | instskip(NEXT) | instid1(VALU_DEP_1)
	v_lshlrev_b64 v[1:2], 2, v[1:2]
	v_add_co_u32 v1, vcc_lo, s6, v1
	s_delay_alu instid0(VALU_DEP_2) | instskip(NEXT) | instid1(VALU_DEP_2)
	v_add_co_ci_u32_e32 v2, vcc_lo, s7, v2, vcc_lo
	v_readfirstlane_b32 s4, v1
	s_delay_alu instid0(VALU_DEP_2)
	v_readfirstlane_b32 s5, v2
	global_load_b32 v1, v5, s[4:5]
	s_waitcnt vmcnt(0)
	v_mul_f32_e32 v8, v6, v1
.LBB20_15:
	v_mbcnt_lo_u32_b32 v1, -1, 0
	s_waitcnt lgkmcnt(0)
	v_max_f32_e64 v3, s0, s0
	s_delay_alu instid0(VALU_DEP_2) | instskip(SKIP_1) | instid1(VALU_DEP_2)
	v_xor_b32_e32 v2, 16, v1
	v_xor_b32_e32 v6, 8, v1
	v_cmp_gt_i32_e32 vcc_lo, 32, v2
	v_cndmask_b32_e32 v2, v1, v2, vcc_lo
	s_delay_alu instid0(VALU_DEP_3) | instskip(NEXT) | instid1(VALU_DEP_2)
	v_cmp_gt_i32_e32 vcc_lo, 32, v6
	v_lshlrev_b32_e32 v2, 2, v2
	v_cndmask_b32_e32 v6, v1, v6, vcc_lo
	s_waitcnt vmcnt(0)
	v_fmac_f32_e32 v8, s22, v7
	s_delay_alu instid0(VALU_DEP_1) | instskip(SKIP_3) | instid1(VALU_DEP_1)
	v_max_f32_e32 v4, v3, v8
	ds_bpermute_b32 v3, v2, v4
	s_waitcnt lgkmcnt(0)
	v_max_f32_e32 v7, v3, v3
	v_dual_max_f32 v6, v4, v7 :: v_dual_lshlrev_b32 v3, 2, v6
	v_xor_b32_e32 v7, 4, v1
	ds_bpermute_b32 v4, v3, v6
	v_cmp_gt_i32_e32 vcc_lo, 32, v7
	v_cndmask_b32_e32 v7, v1, v7, vcc_lo
	s_waitcnt lgkmcnt(0)
	s_delay_alu instid0(VALU_DEP_1) | instskip(NEXT) | instid1(VALU_DEP_1)
	v_dual_max_f32 v9, v4, v4 :: v_dual_lshlrev_b32 v4, 2, v7
	v_max_f32_e32 v7, v6, v9
	v_xor_b32_e32 v9, 2, v1
	ds_bpermute_b32 v6, v4, v7
	v_cmp_gt_i32_e32 vcc_lo, 32, v9
	s_waitcnt lgkmcnt(0)
	v_dual_cndmask_b32 v9, v1, v9 :: v_dual_max_f32 v10, v6, v6
	s_delay_alu instid0(VALU_DEP_1)
	v_dual_max_f32 v7, v7, v10 :: v_dual_lshlrev_b32 v6, 2, v9
	v_xor_b32_e32 v10, 1, v1
	ds_bpermute_b32 v9, v6, v7
	v_cmp_gt_i32_e32 vcc_lo, 32, v10
	s_waitcnt lgkmcnt(0)
	v_max_f32_e32 v9, v9, v9
	s_delay_alu instid0(VALU_DEP_1) | instskip(NEXT) | instid1(VALU_DEP_1)
	v_dual_cndmask_b32 v1, v1, v10 :: v_dual_max_f32 v10, v7, v9
	v_lshlrev_b32_e32 v7, 2, v1
	v_and_b32_e32 v9, 31, v0
	v_lshl_add_u32 v1, v0, 2, 0
	v_lshrrev_b32_e32 v0, 3, v0
	ds_bpermute_b32 v11, v7, v10
	v_cmp_eq_u32_e32 vcc_lo, 0, v9
	ds_store_b32 v1, v8 offset:128
	s_and_saveexec_b32 s0, vcc_lo
	s_delay_alu instid0(SALU_CYCLE_1)
	s_xor_b32 s0, exec_lo, s0
	s_cbranch_execz .LBB20_17
; %bb.16:
	s_waitcnt lgkmcnt(1)
	v_max_f32_e32 v8, v11, v11
	v_max_f32_e32 v10, v10, v10
	s_delay_alu instid0(VALU_DEP_1)
	v_max_f32_e32 v8, v10, v8
	v_add_nc_u32_e32 v10, 0, v0
	ds_store_b32 v10, v8
.LBB20_17:
	s_or_b32 exec_lo, exec_lo, s0
	v_cmp_gt_u32_e64 s0, 2, v9
	v_mov_b32_e32 v10, 0xff800000
	v_lshl_add_u32 v8, v9, 2, 0
	s_waitcnt lgkmcnt(0)
	s_barrier
	buffer_gl0_inv
	s_and_saveexec_b32 s1, s0
	s_cbranch_execz .LBB20_19
; %bb.18:
	ds_load_b32 v10, v8
.LBB20_19:
	s_or_b32 exec_lo, exec_lo, s1
	s_waitcnt lgkmcnt(0)
	ds_bpermute_b32 v9, v2, v10
	v_max_f32_e32 v10, v10, v10
	ds_load_b32 v11, v1 offset:128
	s_waitcnt lgkmcnt(1)
	v_max_f32_e32 v9, v9, v9
	s_delay_alu instid0(VALU_DEP_1) | instskip(SKIP_3) | instid1(VALU_DEP_1)
	v_max_f32_e32 v9, v10, v9
	ds_bpermute_b32 v10, v3, v9
	s_waitcnt lgkmcnt(0)
	v_max_f32_e32 v10, v10, v10
	v_max_f32_e32 v9, v9, v10
	ds_bpermute_b32 v10, v4, v9
	s_waitcnt lgkmcnt(0)
	v_max_f32_e32 v10, v10, v10
	s_delay_alu instid0(VALU_DEP_1) | instskip(SKIP_3) | instid1(VALU_DEP_1)
	v_max_f32_e32 v9, v9, v10
	ds_bpermute_b32 v10, v6, v9
	s_waitcnt lgkmcnt(0)
	v_max_f32_e32 v10, v10, v10
	v_max_f32_e32 v9, v9, v10
	ds_bpermute_b32 v10, v7, v9
	s_waitcnt lgkmcnt(0)
	v_max_f32_e32 v10, v10, v10
	s_delay_alu instid0(VALU_DEP_1) | instskip(NEXT) | instid1(VALU_DEP_1)
	v_max_f32_e32 v9, v9, v10
	v_sub_f32_e32 v10, v11, v9
	s_delay_alu instid0(VALU_DEP_1) | instskip(SKIP_1) | instid1(VALU_DEP_2)
	v_mul_f32_e32 v11, 0x3fb8aa3b, v10
	v_cmp_ngt_f32_e64 s1, 0xc2ce8ed0, v10
	v_fma_f32 v12, 0x3fb8aa3b, v10, -v11
	v_rndne_f32_e32 v13, v11
	s_delay_alu instid0(VALU_DEP_1) | instskip(NEXT) | instid1(VALU_DEP_1)
	v_dual_fmamk_f32 v12, v10, 0x32a5705f, v12 :: v_dual_sub_f32 v11, v11, v13
	v_add_f32_e32 v11, v11, v12
	v_cvt_i32_f32_e32 v12, v13
	s_delay_alu instid0(VALU_DEP_2) | instskip(SKIP_2) | instid1(VALU_DEP_1)
	v_exp_f32_e32 v11, v11
	s_waitcnt_depctr 0xfff
	v_ldexp_f32 v11, v11, v12
	v_cndmask_b32_e64 v11, 0, v11, s1
	v_cmp_nlt_f32_e64 s1, 0x42b17218, v10
	s_delay_alu instid0(VALU_DEP_1)
	v_cndmask_b32_e64 v12, 0x7f800000, v11, s1
	ds_bpermute_b32 v10, v2, v12
	ds_store_b32 v1, v12 offset:128
	s_waitcnt lgkmcnt(1)
	v_add_f32_e32 v10, v12, v10
	ds_bpermute_b32 v11, v3, v10
	s_waitcnt lgkmcnt(0)
	v_add_f32_e32 v10, v10, v11
	ds_bpermute_b32 v11, v4, v10
	;; [unrolled: 3-line block ×4, first 2 shown]
	s_and_saveexec_b32 s1, vcc_lo
	s_cbranch_execz .LBB20_21
; %bb.20:
	s_waitcnt lgkmcnt(0)
	v_add_f32_e32 v10, v10, v11
	v_add_nc_u32_e32 v0, 0, v0
	ds_store_b32 v0, v10
.LBB20_21:
	s_or_b32 exec_lo, exec_lo, s1
	v_mov_b32_e32 v0, 0
	s_waitcnt lgkmcnt(0)
	s_barrier
	buffer_gl0_inv
	s_and_saveexec_b32 s1, s0
	s_cbranch_execz .LBB20_23
; %bb.22:
	ds_load_b32 v0, v8
.LBB20_23:
	s_or_b32 exec_lo, exec_lo, s1
	s_waitcnt lgkmcnt(0)
	ds_bpermute_b32 v2, v2, v0
	s_and_not1_b32 vcc_lo, exec_lo, s12
	s_lshl_b64 s[0:1], s[2:3], 6
	s_waitcnt lgkmcnt(0)
	v_add_f32_e32 v0, v0, v2
	ds_bpermute_b32 v2, v3, v0
	s_waitcnt lgkmcnt(0)
	v_add_f32_e32 v0, v0, v2
	ds_bpermute_b32 v2, v4, v0
	;; [unrolled: 3-line block ×4, first 2 shown]
	s_waitcnt lgkmcnt(0)
	v_add_f32_e32 v0, v0, v2
	s_cbranch_vccnz .LBB20_25
; %bb.24:
	s_lshl_b64 s[2:3], s[14:15], 2
	s_delay_alu instid0(SALU_CYCLE_1) | instskip(SKIP_4) | instid1(VALU_DEP_1)
	s_add_u32 s2, s8, s2
	s_addc_u32 s3, s9, s3
	s_load_b32 s2, s[2:3], 0x0
	s_waitcnt lgkmcnt(0)
	v_sub_f32_e32 v2, s2, v9
	v_mul_f32_e32 v3, 0x3fb8aa3b, v2
	s_delay_alu instid0(VALU_DEP_1) | instskip(SKIP_1) | instid1(VALU_DEP_1)
	v_fma_f32 v4, 0x3fb8aa3b, v2, -v3
	v_rndne_f32_e32 v6, v3
	v_sub_f32_e32 v3, v3, v6
	v_cmp_ngt_f32_e32 vcc_lo, 0xc2ce8ed0, v2
	s_delay_alu instid0(VALU_DEP_4) | instskip(NEXT) | instid1(VALU_DEP_1)
	v_fmamk_f32 v4, v2, 0x32a5705f, v4
	v_add_f32_e32 v3, v3, v4
	v_cvt_i32_f32_e32 v4, v6
	s_delay_alu instid0(VALU_DEP_2) | instskip(SKIP_2) | instid1(VALU_DEP_1)
	v_exp_f32_e32 v3, v3
	s_waitcnt_depctr 0xfff
	v_ldexp_f32 v3, v3, v4
	v_cndmask_b32_e32 v3, 0, v3, vcc_lo
	v_cmp_nlt_f32_e32 vcc_lo, 0x42b17218, v2
	s_delay_alu instid0(VALU_DEP_2) | instskip(NEXT) | instid1(VALU_DEP_1)
	v_cndmask_b32_e32 v2, 0x7f800000, v3, vcc_lo
	v_add_f32_e32 v0, v0, v2
.LBB20_25:
	s_delay_alu instid0(VALU_DEP_1) | instskip(SKIP_4) | instid1(SALU_CYCLE_1)
	v_div_scale_f32 v2, null, v0, v0, 1.0
	v_div_scale_f32 v6, vcc_lo, 1.0, v0, 1.0
	ds_load_b32 v1, v1 offset:128
	v_rcp_f32_e32 v3, v2
	s_lshl_b64 s[0:1], s[0:1], 2
	s_add_u32 s0, s10, s0
	s_addc_u32 s1, s11, s1
	s_waitcnt_depctr 0xfff
	v_fma_f32 v4, -v2, v3, 1.0
	s_delay_alu instid0(VALU_DEP_1) | instskip(NEXT) | instid1(VALU_DEP_1)
	v_fmac_f32_e32 v3, v4, v3
	v_mul_f32_e32 v4, v6, v3
	s_delay_alu instid0(VALU_DEP_1) | instskip(NEXT) | instid1(VALU_DEP_1)
	v_fma_f32 v7, -v2, v4, v6
	v_fmac_f32_e32 v4, v7, v3
	s_delay_alu instid0(VALU_DEP_1) | instskip(NEXT) | instid1(VALU_DEP_1)
	v_fma_f32 v2, -v2, v4, v6
	v_div_fmas_f32 v2, v2, v3, v4
	s_delay_alu instid0(VALU_DEP_1) | instskip(SKIP_1) | instid1(VALU_DEP_1)
	v_div_fixup_f32 v0, v2, v0, 1.0
	s_waitcnt lgkmcnt(0)
	v_mul_f32_e32 v0, v1, v0
	global_store_b32 v5, v0, s[0:1]
	s_nop 0
	s_sendmsg sendmsg(MSG_DEALLOC_VGPRS)
	s_endpgm
	.section	.rodata,"a",@progbits
	.p2align	6, 0x0
	.amdhsa_kernel _ZL12soft_max_f32ILb1ELi64ELi64EfEvPKfPKT2_S1_Pf15soft_max_params
		.amdhsa_group_segment_fixed_size 0
		.amdhsa_private_segment_fixed_size 0
		.amdhsa_kernarg_size 416
		.amdhsa_user_sgpr_count 13
		.amdhsa_user_sgpr_dispatch_ptr 0
		.amdhsa_user_sgpr_queue_ptr 0
		.amdhsa_user_sgpr_kernarg_segment_ptr 1
		.amdhsa_user_sgpr_dispatch_id 0
		.amdhsa_user_sgpr_private_segment_size 0
		.amdhsa_wavefront_size32 1
		.amdhsa_uses_dynamic_stack 0
		.amdhsa_enable_private_segment 0
		.amdhsa_system_sgpr_workgroup_id_x 1
		.amdhsa_system_sgpr_workgroup_id_y 1
		.amdhsa_system_sgpr_workgroup_id_z 1
		.amdhsa_system_sgpr_workgroup_info 0
		.amdhsa_system_vgpr_workitem_id 0
		.amdhsa_next_free_vgpr 19
		.amdhsa_next_free_sgpr 28
		.amdhsa_reserve_vcc 1
		.amdhsa_float_round_mode_32 0
		.amdhsa_float_round_mode_16_64 0
		.amdhsa_float_denorm_mode_32 3
		.amdhsa_float_denorm_mode_16_64 3
		.amdhsa_dx10_clamp 1
		.amdhsa_ieee_mode 1
		.amdhsa_fp16_overflow 0
		.amdhsa_workgroup_processor_mode 1
		.amdhsa_memory_ordered 1
		.amdhsa_forward_progress 0
		.amdhsa_shared_vgpr_count 0
		.amdhsa_exception_fp_ieee_invalid_op 0
		.amdhsa_exception_fp_denorm_src 0
		.amdhsa_exception_fp_ieee_div_zero 0
		.amdhsa_exception_fp_ieee_overflow 0
		.amdhsa_exception_fp_ieee_underflow 0
		.amdhsa_exception_fp_ieee_inexact 0
		.amdhsa_exception_int_div_zero 0
	.end_amdhsa_kernel
	.section	.text._ZL12soft_max_f32ILb1ELi64ELi64EfEvPKfPKT2_S1_Pf15soft_max_params,"axG",@progbits,_ZL12soft_max_f32ILb1ELi64ELi64EfEvPKfPKT2_S1_Pf15soft_max_params,comdat
.Lfunc_end20:
	.size	_ZL12soft_max_f32ILb1ELi64ELi64EfEvPKfPKT2_S1_Pf15soft_max_params, .Lfunc_end20-_ZL12soft_max_f32ILb1ELi64ELi64EfEvPKfPKT2_S1_Pf15soft_max_params
                                        ; -- End function
	.section	.AMDGPU.csdata,"",@progbits
; Kernel info:
; codeLenInByte = 4296
; NumSgprs: 30
; NumVgprs: 19
; ScratchSize: 0
; MemoryBound: 0
; FloatMode: 240
; IeeeMode: 1
; LDSByteSize: 0 bytes/workgroup (compile time only)
; SGPRBlocks: 3
; VGPRBlocks: 2
; NumSGPRsForWavesPerEU: 30
; NumVGPRsForWavesPerEU: 19
; Occupancy: 16
; WaveLimiterHint : 1
; COMPUTE_PGM_RSRC2:SCRATCH_EN: 0
; COMPUTE_PGM_RSRC2:USER_SGPR: 13
; COMPUTE_PGM_RSRC2:TRAP_HANDLER: 0
; COMPUTE_PGM_RSRC2:TGID_X_EN: 1
; COMPUTE_PGM_RSRC2:TGID_Y_EN: 1
; COMPUTE_PGM_RSRC2:TGID_Z_EN: 1
; COMPUTE_PGM_RSRC2:TIDIG_COMP_CNT: 0
	.section	.text._ZL12soft_max_f32ILb1ELi32ELi32EfEvPKfPKT2_S1_Pf15soft_max_params,"axG",@progbits,_ZL12soft_max_f32ILb1ELi32ELi32EfEvPKfPKT2_S1_Pf15soft_max_params,comdat
	.globl	_ZL12soft_max_f32ILb1ELi32ELi32EfEvPKfPKT2_S1_Pf15soft_max_params ; -- Begin function _ZL12soft_max_f32ILb1ELi32ELi32EfEvPKfPKT2_S1_Pf15soft_max_params
	.p2align	8
	.type	_ZL12soft_max_f32ILb1ELi32ELi32EfEvPKfPKT2_S1_Pf15soft_max_params,@function
_ZL12soft_max_f32ILb1ELi32ELi32EfEvPKfPKT2_S1_Pf15soft_max_params: ; @_ZL12soft_max_f32ILb1ELi32ELi32EfEvPKfPKT2_S1_Pf15soft_max_params
; %bb.0:
	s_clause 0x1
	s_load_b256 s[16:23], s[0:1], 0x68
	s_load_b64 s[4:5], s[0:1], 0x88
	s_mov_b32 s2, s15
	s_mov_b32 s15, 0
	s_delay_alu instid0(SALU_CYCLE_1) | instskip(SKIP_2) | instid1(SALU_CYCLE_1)
	s_mov_b32 s6, s15
	s_waitcnt lgkmcnt(0)
	s_mov_b32 s7, s23
	s_cmp_lg_u64 s[6:7], 0
	s_cbranch_scc0 .LBB21_10
; %bb.1:
	s_ashr_i32 s6, s23, 31
	s_delay_alu instid0(SALU_CYCLE_1) | instskip(SKIP_2) | instid1(SALU_CYCLE_1)
	s_add_u32 s8, s22, s6
	s_mov_b32 s7, s6
	s_addc_u32 s9, s23, s6
	s_xor_b64 s[6:7], s[8:9], s[6:7]
	s_delay_alu instid0(SALU_CYCLE_1) | instskip(SKIP_3) | instid1(VALU_DEP_1)
	v_cvt_f32_u32_e32 v1, s6
	v_cvt_f32_u32_e32 v2, s7
	s_sub_u32 s9, 0, s6
	s_subb_u32 s10, 0, s7
	v_fmamk_f32 v1, v2, 0x4f800000, v1
	s_delay_alu instid0(VALU_DEP_1) | instskip(SKIP_2) | instid1(VALU_DEP_1)
	v_rcp_f32_e32 v1, v1
	s_waitcnt_depctr 0xfff
	v_mul_f32_e32 v1, 0x5f7ffffc, v1
	v_mul_f32_e32 v2, 0x2f800000, v1
	s_delay_alu instid0(VALU_DEP_1) | instskip(NEXT) | instid1(VALU_DEP_1)
	v_trunc_f32_e32 v2, v2
	v_fmamk_f32 v1, v2, 0xcf800000, v1
	v_cvt_u32_f32_e32 v2, v2
	s_delay_alu instid0(VALU_DEP_2) | instskip(NEXT) | instid1(VALU_DEP_2)
	v_cvt_u32_f32_e32 v1, v1
	v_readfirstlane_b32 s3, v2
	s_delay_alu instid0(VALU_DEP_2) | instskip(NEXT) | instid1(VALU_DEP_2)
	v_readfirstlane_b32 s8, v1
	s_mul_i32 s11, s9, s3
	s_delay_alu instid0(VALU_DEP_1)
	s_mul_hi_u32 s23, s9, s8
	s_mul_i32 s12, s10, s8
	s_add_i32 s11, s23, s11
	s_mul_i32 s24, s9, s8
	s_add_i32 s11, s11, s12
	s_mul_hi_u32 s23, s8, s24
	s_mul_hi_u32 s25, s3, s24
	s_mul_i32 s12, s3, s24
	s_mul_hi_u32 s24, s8, s11
	s_mul_i32 s8, s8, s11
	s_mul_hi_u32 s26, s3, s11
	s_add_u32 s8, s23, s8
	s_addc_u32 s23, 0, s24
	s_add_u32 s8, s8, s12
	s_mul_i32 s11, s3, s11
	s_addc_u32 s8, s23, s25
	s_addc_u32 s12, s26, 0
	s_add_u32 s8, s8, s11
	s_addc_u32 s11, 0, s12
	v_add_co_u32 v1, s8, v1, s8
	s_delay_alu instid0(VALU_DEP_1) | instskip(SKIP_1) | instid1(VALU_DEP_1)
	s_cmp_lg_u32 s8, 0
	s_addc_u32 s3, s3, s11
	v_readfirstlane_b32 s8, v1
	s_mul_i32 s11, s9, s3
	s_delay_alu instid0(VALU_DEP_1)
	s_mul_hi_u32 s12, s9, s8
	s_mul_i32 s10, s10, s8
	s_add_i32 s11, s12, s11
	s_mul_i32 s9, s9, s8
	s_add_i32 s11, s11, s10
	s_mul_hi_u32 s12, s3, s9
	s_mul_i32 s23, s3, s9
	s_mul_hi_u32 s9, s8, s9
	s_mul_hi_u32 s24, s8, s11
	s_mul_i32 s8, s8, s11
	s_mul_hi_u32 s10, s3, s11
	s_add_u32 s8, s9, s8
	s_addc_u32 s9, 0, s24
	s_add_u32 s8, s8, s23
	s_mul_i32 s11, s3, s11
	s_addc_u32 s8, s9, s12
	s_addc_u32 s9, s10, 0
	s_add_u32 s8, s8, s11
	s_addc_u32 s9, 0, s9
	v_add_co_u32 v1, s8, v1, s8
	s_delay_alu instid0(VALU_DEP_1) | instskip(SKIP_1) | instid1(VALU_DEP_1)
	s_cmp_lg_u32 s8, 0
	s_addc_u32 s3, s3, s9
	v_readfirstlane_b32 s8, v1
	s_mul_i32 s9, s14, s3
	s_mul_hi_u32 s3, s14, s3
	s_delay_alu instid0(VALU_DEP_1) | instskip(NEXT) | instid1(SALU_CYCLE_1)
	s_mul_hi_u32 s8, s14, s8
	s_add_u32 s8, s8, s9
	s_addc_u32 s3, 0, s3
	s_add_u32 s8, s8, 0
	s_addc_u32 s3, s3, 0
	s_addc_u32 s8, 0, 0
	s_add_u32 s3, s3, 0
	s_addc_u32 s8, 0, s8
	s_mul_hi_u32 s9, s6, s3
	s_mul_i32 s8, s6, s8
	s_mul_i32 s10, s7, s3
	;; [unrolled: 1-line block ×3, first 2 shown]
	s_add_i32 s8, s9, s8
	v_sub_co_u32 v1, s3, s14, s3
	s_add_i32 s8, s8, s10
	s_delay_alu instid0(SALU_CYCLE_1) | instskip(SKIP_1) | instid1(VALU_DEP_1)
	s_sub_i32 s9, 0, s8
	s_cmp_lg_u32 s3, 0
	v_sub_co_u32 v2, s10, v1, s6
	s_subb_u32 s9, s9, s7
	s_cmp_lg_u32 s10, 0
	s_subb_u32 s11, s9, 0
	s_delay_alu instid0(VALU_DEP_1)
	v_cmp_le_u32_e32 vcc_lo, s6, v2
	s_cmp_ge_u32 s11, s7
	s_cselect_b32 s12, -1, 0
	s_cmp_eq_u32 s11, s7
	v_cndmask_b32_e64 v3, 0, -1, vcc_lo
	s_cselect_b32 vcc_lo, -1, 0
	s_cmp_lg_u32 s10, 0
	v_sub_co_u32 v4, s10, v2, s6
	s_subb_u32 s9, s9, s7
	s_cmp_lg_u32 s10, 0
	v_cndmask_b32_e32 v3, s12, v3, vcc_lo
	s_subb_u32 s9, s9, 0
	s_cmp_lg_u32 s3, 0
	v_cmp_le_u32_e32 vcc_lo, s6, v1
	s_subb_u32 s8, 0, s8
	s_delay_alu instid0(SALU_CYCLE_1)
	s_cmp_ge_u32 s8, s7
	v_cndmask_b32_e64 v5, 0, -1, vcc_lo
	s_cselect_b32 s6, -1, 0
	s_cmp_eq_u32 s8, s7
	v_cmp_ne_u32_e32 vcc_lo, 0, v3
	v_mov_b32_e32 v3, s9
	s_cselect_b32 s3, -1, 0
	s_delay_alu instid0(SALU_CYCLE_1) | instskip(SKIP_1) | instid1(VALU_DEP_3)
	v_cndmask_b32_e64 v5, s6, v5, s3
	v_cndmask_b32_e32 v2, v2, v4, vcc_lo
	v_cndmask_b32_e32 v3, s11, v3, vcc_lo
	s_mov_b32 s3, s15
	s_delay_alu instid0(VALU_DEP_3) | instskip(NEXT) | instid1(VALU_DEP_3)
	v_cmp_ne_u32_e32 vcc_lo, 0, v5
	v_cndmask_b32_e32 v1, v1, v2, vcc_lo
	s_delay_alu instid0(VALU_DEP_3) | instskip(NEXT) | instid1(VALU_DEP_2)
	v_cndmask_b32_e32 v3, s8, v3, vcc_lo
	v_sub_co_u32 v1, vcc_lo, v1, 0
	s_delay_alu instid0(VALU_DEP_2)
	v_subrev_co_ci_u32_e32 v2, vcc_lo, 0, v3, vcc_lo
	s_and_not1_b32 vcc_lo, exec_lo, s3
	s_cbranch_vccnz .LBB21_3
.LBB21_2:
	v_cvt_f32_u32_e32 v1, s22
	s_mov_b32 s7, 0
	s_sub_i32 s6, 0, s22
	s_delay_alu instid0(VALU_DEP_1) | instskip(SKIP_2) | instid1(VALU_DEP_1)
	v_rcp_iflag_f32_e32 v1, v1
	s_waitcnt_depctr 0xfff
	v_mul_f32_e32 v1, 0x4f7ffffe, v1
	v_cvt_u32_f32_e32 v1, v1
	s_delay_alu instid0(VALU_DEP_1) | instskip(NEXT) | instid1(VALU_DEP_1)
	v_readfirstlane_b32 s3, v1
	s_mul_i32 s6, s6, s3
	s_delay_alu instid0(SALU_CYCLE_1) | instskip(NEXT) | instid1(SALU_CYCLE_1)
	s_mul_hi_u32 s6, s3, s6
	s_add_i32 s3, s3, s6
	s_delay_alu instid0(SALU_CYCLE_1) | instskip(NEXT) | instid1(SALU_CYCLE_1)
	s_mul_hi_u32 s3, s14, s3
	s_mul_i32 s3, s3, s22
	s_delay_alu instid0(SALU_CYCLE_1) | instskip(NEXT) | instid1(SALU_CYCLE_1)
	s_sub_i32 s3, s14, s3
	s_sub_i32 s6, s3, s22
	s_cmp_ge_u32 s3, s22
	s_cselect_b32 s3, s6, s3
	s_delay_alu instid0(SALU_CYCLE_1) | instskip(SKIP_2) | instid1(SALU_CYCLE_1)
	s_sub_i32 s6, s3, s22
	s_cmp_ge_u32 s3, s22
	s_cselect_b32 s6, s6, s3
	v_dual_mov_b32 v1, s6 :: v_dual_mov_b32 v2, s7
.LBB21_3:
	s_load_b64 s[22:23], s[0:1], 0x90
	s_mov_b32 s6, 0
	s_mov_b32 s7, s5
	s_delay_alu instid0(SALU_CYCLE_1)
	s_cmp_lg_u64 s[6:7], 0
	s_cbranch_scc0 .LBB21_11
; %bb.4:
	s_ashr_i32 s8, s5, 31
	s_delay_alu instid0(SALU_CYCLE_1) | instskip(SKIP_2) | instid1(SALU_CYCLE_1)
	s_add_u32 s10, s4, s8
	s_mov_b32 s9, s8
	s_addc_u32 s11, s5, s8
	s_xor_b64 s[8:9], s[10:11], s[8:9]
	s_delay_alu instid0(SALU_CYCLE_1) | instskip(SKIP_3) | instid1(VALU_DEP_1)
	v_cvt_f32_u32_e32 v3, s8
	v_cvt_f32_u32_e32 v4, s9
	s_sub_u32 s7, 0, s8
	s_subb_u32 s10, 0, s9
	v_fmamk_f32 v3, v4, 0x4f800000, v3
	s_delay_alu instid0(VALU_DEP_1) | instskip(SKIP_2) | instid1(VALU_DEP_1)
	v_rcp_f32_e32 v3, v3
	s_waitcnt_depctr 0xfff
	v_mul_f32_e32 v3, 0x5f7ffffc, v3
	v_mul_f32_e32 v4, 0x2f800000, v3
	s_delay_alu instid0(VALU_DEP_1) | instskip(NEXT) | instid1(VALU_DEP_1)
	v_trunc_f32_e32 v4, v4
	v_fmamk_f32 v3, v4, 0xcf800000, v3
	v_cvt_u32_f32_e32 v4, v4
	s_delay_alu instid0(VALU_DEP_2) | instskip(NEXT) | instid1(VALU_DEP_2)
	v_cvt_u32_f32_e32 v3, v3
	v_readfirstlane_b32 s3, v4
	s_delay_alu instid0(VALU_DEP_2) | instskip(NEXT) | instid1(VALU_DEP_2)
	v_readfirstlane_b32 s5, v3
	s_mul_i32 s11, s7, s3
	s_delay_alu instid0(VALU_DEP_1)
	s_mul_hi_u32 s24, s7, s5
	s_mul_i32 s12, s10, s5
	s_add_i32 s11, s24, s11
	s_mul_i32 s25, s7, s5
	s_add_i32 s11, s11, s12
	s_mul_hi_u32 s24, s5, s25
	s_mul_hi_u32 s26, s3, s25
	s_mul_i32 s12, s3, s25
	s_mul_hi_u32 s25, s5, s11
	s_mul_i32 s5, s5, s11
	s_mul_hi_u32 s27, s3, s11
	s_add_u32 s5, s24, s5
	s_addc_u32 s24, 0, s25
	s_add_u32 s5, s5, s12
	s_mul_i32 s11, s3, s11
	s_addc_u32 s5, s24, s26
	s_addc_u32 s12, s27, 0
	s_add_u32 s5, s5, s11
	s_addc_u32 s11, 0, s12
	v_add_co_u32 v3, s5, v3, s5
	s_delay_alu instid0(VALU_DEP_1) | instskip(SKIP_1) | instid1(VALU_DEP_1)
	s_cmp_lg_u32 s5, 0
	s_addc_u32 s3, s3, s11
	v_readfirstlane_b32 s5, v3
	s_mul_i32 s11, s7, s3
	s_delay_alu instid0(VALU_DEP_1)
	s_mul_hi_u32 s12, s7, s5
	s_mul_i32 s10, s10, s5
	s_add_i32 s11, s12, s11
	s_mul_i32 s7, s7, s5
	s_add_i32 s11, s11, s10
	s_mul_hi_u32 s12, s3, s7
	s_mul_i32 s24, s3, s7
	s_mul_hi_u32 s7, s5, s7
	s_mul_hi_u32 s25, s5, s11
	s_mul_i32 s5, s5, s11
	s_mul_hi_u32 s10, s3, s11
	s_add_u32 s5, s7, s5
	s_addc_u32 s7, 0, s25
	s_add_u32 s5, s5, s24
	s_mul_i32 s11, s3, s11
	s_addc_u32 s5, s7, s12
	s_addc_u32 s7, s10, 0
	s_add_u32 s5, s5, s11
	s_addc_u32 s7, 0, s7
	v_add_co_u32 v3, s5, v3, s5
	s_delay_alu instid0(VALU_DEP_1) | instskip(SKIP_1) | instid1(VALU_DEP_1)
	s_cmp_lg_u32 s5, 0
	s_addc_u32 s3, s3, s7
	v_readfirstlane_b32 s5, v3
	s_mul_i32 s7, s2, s3
	s_mul_hi_u32 s3, s2, s3
	s_delay_alu instid0(VALU_DEP_1) | instskip(NEXT) | instid1(SALU_CYCLE_1)
	s_mul_hi_u32 s5, s2, s5
	s_add_u32 s5, s5, s7
	s_addc_u32 s3, 0, s3
	s_add_u32 s5, s5, 0
	s_addc_u32 s3, s3, 0
	s_addc_u32 s5, 0, 0
	s_add_u32 s3, s3, 0
	s_addc_u32 s5, 0, s5
	s_mul_hi_u32 s7, s8, s3
	s_mul_i32 s5, s8, s5
	s_mul_i32 s10, s9, s3
	s_mul_i32 s3, s8, s3
	s_add_i32 s5, s7, s5
	v_sub_co_u32 v3, s3, s2, s3
	s_add_i32 s5, s5, s10
	s_delay_alu instid0(SALU_CYCLE_1) | instskip(SKIP_1) | instid1(VALU_DEP_1)
	s_sub_i32 s7, 0, s5
	s_cmp_lg_u32 s3, 0
	v_sub_co_u32 v4, s10, v3, s8
	s_subb_u32 s7, s7, s9
	s_cmp_lg_u32 s10, 0
	s_subb_u32 s11, s7, 0
	s_delay_alu instid0(VALU_DEP_1)
	v_cmp_le_u32_e32 vcc_lo, s8, v4
	s_cmp_ge_u32 s11, s9
	s_cselect_b32 s12, -1, 0
	s_cmp_eq_u32 s11, s9
	v_cndmask_b32_e64 v5, 0, -1, vcc_lo
	s_cselect_b32 vcc_lo, -1, 0
	s_cmp_lg_u32 s10, 0
	v_sub_co_u32 v6, s10, v4, s8
	s_subb_u32 s7, s7, s9
	s_cmp_lg_u32 s10, 0
	v_cndmask_b32_e32 v5, s12, v5, vcc_lo
	s_subb_u32 s7, s7, 0
	s_cmp_lg_u32 s3, 0
	v_cmp_le_u32_e32 vcc_lo, s8, v3
	s_subb_u32 s5, 0, s5
	s_delay_alu instid0(SALU_CYCLE_1)
	s_cmp_ge_u32 s5, s9
	v_cndmask_b32_e64 v7, 0, -1, vcc_lo
	s_cselect_b32 s8, -1, 0
	s_cmp_eq_u32 s5, s9
	v_cmp_ne_u32_e32 vcc_lo, 0, v5
	v_mov_b32_e32 v5, s7
	s_cselect_b32 s3, -1, 0
	s_delay_alu instid0(SALU_CYCLE_1) | instskip(SKIP_1) | instid1(VALU_DEP_3)
	v_cndmask_b32_e64 v7, s8, v7, s3
	v_cndmask_b32_e32 v4, v4, v6, vcc_lo
	v_cndmask_b32_e32 v5, s11, v5, vcc_lo
	s_delay_alu instid0(VALU_DEP_3) | instskip(NEXT) | instid1(VALU_DEP_3)
	v_cmp_ne_u32_e32 vcc_lo, 0, v7
	v_cndmask_b32_e32 v3, v3, v4, vcc_lo
	s_delay_alu instid0(VALU_DEP_3) | instskip(NEXT) | instid1(VALU_DEP_2)
	v_cndmask_b32_e32 v5, s5, v5, vcc_lo
	v_sub_co_u32 v3, vcc_lo, v3, 0
	s_delay_alu instid0(VALU_DEP_2)
	v_subrev_co_ci_u32_e32 v4, vcc_lo, 0, v5, vcc_lo
	s_and_not1_b32 vcc_lo, exec_lo, s6
	s_cbranch_vccnz .LBB21_6
.LBB21_5:
	v_cvt_f32_u32_e32 v3, s4
	s_sub_i32 s5, 0, s4
	s_delay_alu instid0(VALU_DEP_1) | instskip(SKIP_2) | instid1(VALU_DEP_1)
	v_rcp_iflag_f32_e32 v3, v3
	s_waitcnt_depctr 0xfff
	v_mul_f32_e32 v3, 0x4f7ffffe, v3
	v_cvt_u32_f32_e32 v3, v3
	s_delay_alu instid0(VALU_DEP_1) | instskip(NEXT) | instid1(VALU_DEP_1)
	v_readfirstlane_b32 s3, v3
	s_mul_i32 s5, s5, s3
	s_delay_alu instid0(SALU_CYCLE_1) | instskip(NEXT) | instid1(SALU_CYCLE_1)
	s_mul_hi_u32 s5, s3, s5
	s_add_i32 s3, s3, s5
	s_delay_alu instid0(SALU_CYCLE_1) | instskip(NEXT) | instid1(SALU_CYCLE_1)
	s_mul_hi_u32 s3, s2, s3
	s_mul_i32 s3, s3, s4
	s_delay_alu instid0(SALU_CYCLE_1) | instskip(NEXT) | instid1(SALU_CYCLE_1)
	s_sub_i32 s3, s2, s3
	s_sub_i32 s5, s3, s4
	s_cmp_ge_u32 s3, s4
	s_cselect_b32 s3, s5, s3
	s_mov_b32 s5, 0
	s_sub_i32 s6, s3, s4
	s_cmp_ge_u32 s3, s4
	s_cselect_b32 s4, s6, s3
	s_delay_alu instid0(SALU_CYCLE_1)
	v_dual_mov_b32 v3, s4 :: v_dual_mov_b32 v4, s5
.LBB21_6:
	s_load_b64 s[24:25], s[0:1], 0xa0
	s_waitcnt lgkmcnt(0)
	v_cmp_le_f32_e64 s3, s23, 0
	v_mov_b32_e32 v6, 1.0
	s_delay_alu instid0(VALU_DEP_2)
	s_and_b32 vcc_lo, exec_lo, s3
	s_cbranch_vccnz .LBB21_8
; %bb.7:
	s_clause 0x1
	s_load_b32 s3, s[0:1], 0x28
	s_load_b64 s[4:5], s[0:1], 0x98
	s_add_i32 s7, s14, 1
	s_waitcnt lgkmcnt(0)
	s_sub_i32 s6, s14, s3
	v_mov_b32_e32 v5, s4
	s_lshl_b32 s6, s6, 1
	s_delay_alu instid0(SALU_CYCLE_1)
	s_or_b32 s4, s6, 1
	s_cmp_lt_u32 s14, s3
	s_cselect_b32 vcc_lo, -1, 0
	v_cndmask_b32_e32 v7, s5, v5, vcc_lo
	s_and_b32 s3, vcc_lo, exec_lo
	s_cselect_b32 s3, s7, s4
	s_mov_b32 s4, 0x3e76c4e1
	v_cvt_f32_i32_e32 v5, s3
	v_cmp_neq_f32_e32 vcc_lo, 1.0, v7
	s_delay_alu instid0(VALU_DEP_2) | instskip(NEXT) | instid1(VALU_DEP_1)
	v_cndmask_b32_e32 v8, 1.0, v5, vcc_lo
	v_cmp_eq_f32_e32 vcc_lo, 0, v8
	v_cndmask_b32_e64 v9, |v7|, 1.0, vcc_lo
	s_delay_alu instid0(VALU_DEP_1) | instskip(NEXT) | instid1(VALU_DEP_1)
	v_frexp_mant_f32_e32 v5, v9
	v_cmp_gt_f32_e64 s3, 0x3f2aaaab, v5
	s_delay_alu instid0(VALU_DEP_1) | instskip(NEXT) | instid1(VALU_DEP_1)
	v_cndmask_b32_e64 v6, 1.0, 2.0, s3
	v_mul_f32_e32 v5, v5, v6
	s_delay_alu instid0(VALU_DEP_1) | instskip(SKIP_1) | instid1(VALU_DEP_2)
	v_add_f32_e32 v6, 1.0, v5
	v_add_f32_e32 v11, -1.0, v5
	v_rcp_f32_e32 v10, v6
	s_waitcnt_depctr 0xfff
	v_mul_f32_e32 v12, v11, v10
	s_delay_alu instid0(VALU_DEP_1) | instskip(NEXT) | instid1(VALU_DEP_1)
	v_dual_add_f32 v13, -1.0, v6 :: v_dual_mul_f32 v14, v6, v12
	v_sub_f32_e32 v5, v5, v13
	v_cndmask_b32_e64 v7, v7, 1.0, vcc_lo
	s_delay_alu instid0(VALU_DEP_3) | instskip(NEXT) | instid1(VALU_DEP_2)
	v_fma_f32 v6, v12, v6, -v14
	v_cmp_eq_f32_e64 s5, 0, v7
	s_delay_alu instid0(VALU_DEP_2) | instskip(NEXT) | instid1(VALU_DEP_1)
	v_fmac_f32_e32 v6, v12, v5
	v_add_f32_e32 v5, v14, v6
	s_delay_alu instid0(VALU_DEP_1) | instskip(NEXT) | instid1(VALU_DEP_1)
	v_dual_sub_f32 v14, v5, v14 :: v_dual_sub_f32 v13, v11, v5
	v_dual_sub_f32 v6, v14, v6 :: v_dual_sub_f32 v11, v11, v13
	s_delay_alu instid0(VALU_DEP_1) | instskip(NEXT) | instid1(VALU_DEP_1)
	v_sub_f32_e32 v5, v11, v5
	v_add_f32_e32 v5, v6, v5
	s_delay_alu instid0(VALU_DEP_1) | instskip(NEXT) | instid1(VALU_DEP_1)
	v_add_f32_e32 v5, v13, v5
	v_mul_f32_e32 v5, v10, v5
	s_delay_alu instid0(VALU_DEP_1) | instskip(NEXT) | instid1(VALU_DEP_1)
	v_add_f32_e32 v10, v12, v5
	v_sub_f32_e32 v6, v10, v12
	v_mul_f32_e32 v11, v10, v10
	s_delay_alu instid0(VALU_DEP_2) | instskip(NEXT) | instid1(VALU_DEP_2)
	v_sub_f32_e32 v12, v5, v6
	v_fma_f32 v13, v10, v10, -v11
	s_delay_alu instid0(VALU_DEP_2) | instskip(NEXT) | instid1(VALU_DEP_1)
	v_add_f32_e32 v5, v12, v12
	v_fmac_f32_e32 v13, v10, v5
	v_cvt_f64_f32_e32 v[5:6], v9
	s_delay_alu instid0(VALU_DEP_2) | instskip(NEXT) | instid1(VALU_DEP_1)
	v_add_f32_e32 v14, v11, v13
	v_fmaak_f32 v15, s4, v14, 0x3e91f4c4
	v_sub_f32_e32 v11, v14, v11
	v_mul_f32_e32 v18, v10, v14
	s_delay_alu instid0(VALU_DEP_3) | instskip(NEXT) | instid1(VALU_DEP_3)
	v_fmaak_f32 v15, v14, v15, 0x3ecccdef
	v_sub_f32_e32 v11, v13, v11
	s_delay_alu instid0(VALU_DEP_2) | instskip(NEXT) | instid1(VALU_DEP_1)
	v_mul_f32_e32 v16, v14, v15
	v_fma_f32 v13, v14, v15, -v16
	s_delay_alu instid0(VALU_DEP_1) | instskip(NEXT) | instid1(VALU_DEP_1)
	v_fmac_f32_e32 v13, v11, v15
	v_add_f32_e32 v15, v16, v13
	v_frexp_exp_i32_f64_e32 v5, v[5:6]
	s_delay_alu instid0(VALU_DEP_2) | instskip(NEXT) | instid1(VALU_DEP_1)
	v_sub_f32_e32 v16, v15, v16
	v_sub_f32_e32 v6, v13, v16
	v_fma_f32 v16, v14, v10, -v18
	s_delay_alu instid0(VALU_DEP_2) | instskip(NEXT) | instid1(VALU_DEP_2)
	v_add_f32_e32 v6, 0x31739010, v6
	v_dual_add_f32 v17, 0x3f2aaaaa, v15 :: v_dual_fmac_f32 v16, v14, v12
	v_ldexp_f32 v12, v12, 1
	s_delay_alu instid0(VALU_DEP_2) | instskip(NEXT) | instid1(VALU_DEP_1)
	v_dual_add_f32 v13, 0xbf2aaaaa, v17 :: v_dual_fmac_f32 v16, v11, v10
	v_sub_f32_e32 v13, v15, v13
	s_delay_alu instid0(VALU_DEP_1) | instskip(NEXT) | instid1(VALU_DEP_3)
	v_add_f32_e32 v6, v6, v13
	v_add_f32_e32 v13, v18, v16
	s_delay_alu instid0(VALU_DEP_2) | instskip(NEXT) | instid1(VALU_DEP_1)
	v_add_f32_e32 v11, v17, v6
	v_sub_f32_e32 v14, v17, v11
	s_delay_alu instid0(VALU_DEP_3) | instskip(SKIP_2) | instid1(VALU_DEP_4)
	v_mul_f32_e32 v15, v13, v11
	v_sub_f32_e32 v17, v13, v18
	v_subrev_co_ci_u32_e64 v5, s3, 0, v5, s3
	v_add_f32_e32 v6, v6, v14
	s_delay_alu instid0(VALU_DEP_4) | instskip(NEXT) | instid1(VALU_DEP_4)
	v_fma_f32 v14, v13, v11, -v15
	v_sub_f32_e32 v16, v16, v17
	s_delay_alu instid0(VALU_DEP_4) | instskip(NEXT) | instid1(VALU_DEP_3)
	v_cvt_f32_i32_e32 v5, v5
	v_fmac_f32_e32 v14, v13, v6
	v_ldexp_f32 v6, v10, 1
	s_delay_alu instid0(VALU_DEP_2) | instskip(NEXT) | instid1(VALU_DEP_1)
	v_fmac_f32_e32 v14, v16, v11
	v_add_f32_e32 v10, v15, v14
	s_delay_alu instid0(VALU_DEP_1) | instskip(NEXT) | instid1(VALU_DEP_1)
	v_add_f32_e32 v11, v6, v10
	v_dual_sub_f32 v6, v11, v6 :: v_dual_sub_f32 v13, v10, v15
	s_delay_alu instid0(VALU_DEP_1) | instskip(NEXT) | instid1(VALU_DEP_2)
	v_sub_f32_e32 v6, v10, v6
	v_sub_f32_e32 v13, v14, v13
	s_delay_alu instid0(VALU_DEP_1) | instskip(NEXT) | instid1(VALU_DEP_1)
	v_add_f32_e32 v10, v12, v13
	v_dual_mul_f32 v15, 0x3f317218, v5 :: v_dual_add_f32 v6, v10, v6
	s_delay_alu instid0(VALU_DEP_1) | instskip(NEXT) | instid1(VALU_DEP_2)
	v_fma_f32 v14, 0x3f317218, v5, -v15
	v_add_f32_e32 v12, v11, v6
	s_delay_alu instid0(VALU_DEP_1) | instskip(NEXT) | instid1(VALU_DEP_1)
	v_sub_f32_e32 v11, v12, v11
	v_dual_fmamk_f32 v5, v5, 0xb102e308, v14 :: v_dual_sub_f32 v6, v6, v11
	s_delay_alu instid0(VALU_DEP_1) | instskip(NEXT) | instid1(VALU_DEP_1)
	v_add_f32_e32 v10, v15, v5
	v_add_f32_e32 v13, v10, v12
	s_delay_alu instid0(VALU_DEP_1) | instskip(NEXT) | instid1(VALU_DEP_1)
	v_dual_sub_f32 v15, v10, v15 :: v_dual_sub_f32 v14, v13, v10
	v_sub_f32_e32 v16, v13, v14
	s_delay_alu instid0(VALU_DEP_2) | instskip(NEXT) | instid1(VALU_DEP_2)
	v_sub_f32_e32 v5, v5, v15
	v_dual_sub_f32 v11, v12, v14 :: v_dual_sub_f32 v10, v10, v16
	s_delay_alu instid0(VALU_DEP_2) | instskip(NEXT) | instid1(VALU_DEP_2)
	v_add_f32_e32 v12, v5, v6
	v_add_f32_e32 v10, v11, v10
	s_delay_alu instid0(VALU_DEP_1) | instskip(NEXT) | instid1(VALU_DEP_1)
	v_add_f32_e32 v10, v12, v10
	v_dual_sub_f32 v11, v12, v5 :: v_dual_add_f32 v14, v13, v10
	s_delay_alu instid0(VALU_DEP_1) | instskip(SKIP_1) | instid1(VALU_DEP_3)
	v_sub_f32_e32 v12, v12, v11
	v_sub_f32_e32 v6, v6, v11
	;; [unrolled: 1-line block ×3, first 2 shown]
	s_delay_alu instid0(VALU_DEP_3) | instskip(NEXT) | instid1(VALU_DEP_1)
	v_sub_f32_e32 v5, v5, v12
	v_add_f32_e32 v5, v6, v5
	s_delay_alu instid0(VALU_DEP_3) | instskip(NEXT) | instid1(VALU_DEP_1)
	v_sub_f32_e32 v6, v10, v11
	v_add_f32_e32 v5, v5, v6
	s_delay_alu instid0(VALU_DEP_1) | instskip(NEXT) | instid1(VALU_DEP_1)
	v_add_f32_e32 v6, v14, v5
	v_mul_f32_e32 v11, v8, v6
	v_sub_f32_e32 v10, v6, v14
	s_delay_alu instid0(VALU_DEP_2) | instskip(NEXT) | instid1(VALU_DEP_2)
	v_fma_f32 v6, v8, v6, -v11
	v_sub_f32_e32 v5, v5, v10
	v_cmp_class_f32_e64 s3, v11, 0x204
	s_delay_alu instid0(VALU_DEP_2) | instskip(NEXT) | instid1(VALU_DEP_1)
	v_fmac_f32_e32 v6, v8, v5
	v_add_f32_e32 v5, v11, v6
	s_delay_alu instid0(VALU_DEP_1) | instskip(NEXT) | instid1(VALU_DEP_1)
	v_cndmask_b32_e64 v10, v5, v11, s3
	v_cmp_eq_f32_e64 s3, 0x42b17218, v10
	s_delay_alu instid0(VALU_DEP_1) | instskip(SKIP_1) | instid1(VALU_DEP_2)
	v_cndmask_b32_e64 v12, 0, 0x37000000, s3
	v_cmp_neq_f32_e64 s3, 0x7f800000, |v10|
	v_sub_f32_e32 v13, v10, v12
	v_trunc_f32_e32 v10, v8
	s_delay_alu instid0(VALU_DEP_2) | instskip(NEXT) | instid1(VALU_DEP_1)
	v_mul_f32_e32 v14, 0x3fb8aa3b, v13
	v_fma_f32 v15, 0x3fb8aa3b, v13, -v14
	v_rndne_f32_e32 v16, v14
	s_delay_alu instid0(VALU_DEP_1) | instskip(NEXT) | instid1(VALU_DEP_1)
	v_dual_fmamk_f32 v15, v13, 0x32a5705f, v15 :: v_dual_sub_f32 v14, v14, v16
	v_add_f32_e32 v14, v14, v15
	v_sub_f32_e32 v5, v5, v11
	v_cvt_i32_f32_e32 v11, v16
	s_delay_alu instid0(VALU_DEP_3) | instskip(NEXT) | instid1(VALU_DEP_2)
	v_exp_f32_e32 v14, v14
	v_sub_f32_e32 v5, v6, v5
	s_delay_alu instid0(VALU_DEP_1)
	v_cndmask_b32_e64 v5, 0, v5, s3
	v_cmp_ngt_f32_e64 s3, 0xc2ce8ed0, v13
	s_waitcnt_depctr 0xfff
	v_ldexp_f32 v6, v14, v11
	v_mul_f32_e32 v11, 0.5, v8
	v_add_f32_e32 v5, v12, v5
	s_delay_alu instid0(VALU_DEP_3) | instskip(NEXT) | instid1(VALU_DEP_3)
	v_cndmask_b32_e64 v6, 0, v6, s3
	v_trunc_f32_e32 v14, v11
	v_cmp_nlt_f32_e64 s3, 0x42b17218, v13
	s_delay_alu instid0(VALU_DEP_2) | instskip(NEXT) | instid1(VALU_DEP_2)
	v_cmp_neq_f32_e64 s4, v14, v11
	v_cndmask_b32_e64 v6, 0x7f800000, v6, s3
	v_cmp_eq_f32_e64 s3, v10, v8
	s_delay_alu instid0(VALU_DEP_2) | instskip(NEXT) | instid1(VALU_DEP_2)
	v_fma_f32 v5, v6, v5, v6
	s_and_b32 vcc_lo, s3, s4
	v_cmp_class_f32_e64 s4, v6, 0x204
	v_cndmask_b32_e32 v10, 1.0, v7, vcc_lo
	s_delay_alu instid0(VALU_DEP_2) | instskip(SKIP_1) | instid1(VALU_DEP_2)
	v_cndmask_b32_e64 v5, v5, v6, s4
	v_cmp_gt_f32_e64 s4, 0, v8
	v_bfi_b32 v5, 0x7fffffff, v5, v10
	s_delay_alu instid0(VALU_DEP_2)
	s_xor_b32 s4, s4, s5
	v_cndmask_b32_e32 v10, 0, v7, vcc_lo
	v_cndmask_b32_e64 v6, 0x7f800000, 0, s4
	v_cmp_eq_f32_e32 vcc_lo, 0x7f800000, v9
	v_cndmask_b32_e64 v8, 0x7fc00000, v5, s3
	v_cmp_gt_f32_e64 s3, 0, v7
	s_delay_alu instid0(VALU_DEP_4) | instskip(SKIP_1) | instid1(VALU_DEP_2)
	v_bfi_b32 v6, 0x7fffffff, v6, v10
	s_or_b32 vcc_lo, vcc_lo, s5
	v_cndmask_b32_e64 v5, v5, v8, s3
	s_delay_alu instid0(VALU_DEP_1) | instskip(SKIP_1) | instid1(VALU_DEP_2)
	v_cndmask_b32_e32 v5, v5, v6, vcc_lo
	v_cmp_o_f32_e32 vcc_lo, v7, v7
	v_cndmask_b32_e32 v6, 0x7fc00000, v5, vcc_lo
.LBB21_8:
	s_load_b256 s[4:11], s[0:1], 0x0
	s_waitcnt lgkmcnt(0)
	s_cmp_lg_u64 s[8:9], 0
	s_cselect_b32 s3, -1, 0
	s_cmp_eq_u64 s[8:9], 0
	s_cbranch_scc1 .LBB21_12
; %bb.9:
	s_lshl_b64 s[0:1], s[14:15], 2
	s_delay_alu instid0(SALU_CYCLE_1)
	s_add_u32 s0, s8, s0
	s_addc_u32 s1, s9, s1
	s_load_b32 s12, s[0:1], 0x0
	s_branch .LBB21_13
.LBB21_10:
                                        ; implicit-def: $vgpr1_vgpr2
	s_branch .LBB21_2
.LBB21_11:
                                        ; implicit-def: $vgpr3_vgpr4
	s_branch .LBB21_5
.LBB21_12:
	s_mov_b32 s12, 0xff800000
.LBB21_13:
	s_mul_i32 s0, s25, s2
	v_dual_mov_b32 v8, 0 :: v_dual_lshlrev_b32 v5, 2, v0
	s_add_i32 s0, s0, s14
	s_delay_alu instid0(SALU_CYCLE_1) | instskip(NEXT) | instid1(SALU_CYCLE_1)
	s_mul_i32 s0, s0, s24
	s_add_i32 s0, s0, s13
	s_delay_alu instid0(SALU_CYCLE_1) | instskip(NEXT) | instid1(SALU_CYCLE_1)
	s_ashr_i32 s1, s0, 31
	s_lshl_b64 s[24:25], s[0:1], 7
	s_delay_alu instid0(SALU_CYCLE_1) | instskip(SKIP_4) | instid1(SALU_CYCLE_1)
	s_add_u32 s4, s4, s24
	s_addc_u32 s5, s5, s25
	s_cmp_eq_u64 s[6:7], 0
	global_load_b32 v7, v5, s[4:5]
	s_cselect_b32 s2, -1, 0
	s_and_b32 vcc_lo, exec_lo, s2
	s_cbranch_vccnz .LBB21_15
; %bb.14:
	v_mul_lo_u32 v8, v1, s19
	v_mul_hi_u32 v9, v1, s18
	v_mul_lo_u32 v10, v3, s21
	v_mul_hi_u32 v11, v3, s20
	v_mul_lo_u32 v2, v2, s18
	v_mul_lo_u32 v1, v1, s18
	;; [unrolled: 1-line block ×4, first 2 shown]
	s_mul_i32 s4, s17, s13
	v_add_nc_u32_e32 v8, v9, v8
	s_mul_hi_u32 s5, s16, s13
	v_add_nc_u32_e32 v9, v11, v10
	s_mul_i32 s13, s16, s13
	s_add_i32 s5, s5, s4
	v_add_nc_u32_e32 v2, v8, v2
	v_add_co_u32 v1, vcc_lo, v1, s13
	v_add_nc_u32_e32 v4, v9, v4
	s_delay_alu instid0(VALU_DEP_3) | instskip(NEXT) | instid1(VALU_DEP_3)
	v_add_co_ci_u32_e32 v2, vcc_lo, s5, v2, vcc_lo
	v_add_co_u32 v1, vcc_lo, v1, v3
	s_delay_alu instid0(VALU_DEP_2) | instskip(NEXT) | instid1(VALU_DEP_1)
	v_add_co_ci_u32_e32 v2, vcc_lo, v2, v4, vcc_lo
	v_lshrrev_b64 v[1:2], 2, v[1:2]
	s_delay_alu instid0(VALU_DEP_1) | instskip(NEXT) | instid1(VALU_DEP_2)
	v_cndmask_b32_e64 v2, v2, 0, s2
	v_cndmask_b32_e64 v1, v1, 0, s2
	s_delay_alu instid0(VALU_DEP_1) | instskip(NEXT) | instid1(VALU_DEP_1)
	v_lshlrev_b64 v[1:2], 2, v[1:2]
	v_add_co_u32 v1, vcc_lo, s6, v1
	s_delay_alu instid0(VALU_DEP_2) | instskip(NEXT) | instid1(VALU_DEP_2)
	v_add_co_ci_u32_e32 v2, vcc_lo, s7, v2, vcc_lo
	v_readfirstlane_b32 s4, v1
	s_delay_alu instid0(VALU_DEP_2)
	v_readfirstlane_b32 s5, v2
	global_load_b32 v1, v5, s[4:5]
	s_waitcnt vmcnt(0)
	v_mul_f32_e32 v8, v6, v1
.LBB21_15:
	v_mbcnt_lo_u32_b32 v1, -1, 0
	s_waitcnt lgkmcnt(0)
	v_max_f32_e64 v3, s12, s12
	s_lshl_b64 s[0:1], s[0:1], 5
	s_delay_alu instid0(VALU_DEP_2)
	v_xor_b32_e32 v2, 16, v1
	v_xor_b32_e32 v6, 8, v1
	;; [unrolled: 1-line block ×3, first 2 shown]
	s_waitcnt vmcnt(0)
	v_fmac_f32_e32 v8, s22, v7
	v_xor_b32_e32 v7, 4, v1
	v_cmp_gt_i32_e32 vcc_lo, 32, v2
	v_xor_b32_e32 v10, 1, v1
	v_cndmask_b32_e32 v2, v1, v2, vcc_lo
	v_cmp_gt_i32_e32 vcc_lo, 32, v6
	v_cndmask_b32_e32 v6, v1, v6, vcc_lo
	v_cmp_gt_i32_e32 vcc_lo, 32, v7
	;; [unrolled: 2-line block ×3, first 2 shown]
	v_cndmask_b32_e32 v9, v1, v9, vcc_lo
	v_dual_max_f32 v3, v3, v8 :: v_dual_lshlrev_b32 v4, 2, v2
	v_cmp_gt_i32_e32 vcc_lo, 32, v10
	s_delay_alu instid0(VALU_DEP_3) | instskip(SKIP_2) | instid1(VALU_DEP_1)
	v_lshlrev_b32_e32 v9, 2, v9
	ds_bpermute_b32 v2, v4, v3
	v_cndmask_b32_e32 v1, v1, v10, vcc_lo
	v_lshlrev_b32_e32 v10, 2, v1
	v_lshlrev_b32_e32 v7, 2, v7
	;; [unrolled: 1-line block ×3, first 2 shown]
	s_waitcnt lgkmcnt(0)
	v_max_f32_e32 v2, v2, v2
	s_delay_alu instid0(VALU_DEP_1) | instskip(SKIP_3) | instid1(VALU_DEP_1)
	v_max_f32_e32 v2, v3, v2
	ds_bpermute_b32 v3, v6, v2
	s_waitcnt lgkmcnt(0)
	v_max_f32_e32 v3, v3, v3
	v_max_f32_e32 v2, v2, v3
	ds_bpermute_b32 v3, v7, v2
	s_waitcnt lgkmcnt(0)
	v_max_f32_e32 v3, v3, v3
	s_delay_alu instid0(VALU_DEP_1) | instskip(SKIP_3) | instid1(VALU_DEP_1)
	v_max_f32_e32 v2, v2, v3
	ds_bpermute_b32 v3, v9, v2
	s_waitcnt lgkmcnt(0)
	v_max_f32_e32 v3, v3, v3
	v_max_f32_e32 v1, v2, v3
	ds_bpermute_b32 v2, v10, v1
	s_waitcnt lgkmcnt(0)
	v_max_f32_e32 v2, v2, v2
	s_delay_alu instid0(VALU_DEP_1) | instskip(NEXT) | instid1(VALU_DEP_1)
	v_max_f32_e32 v2, v1, v2
	v_sub_f32_e32 v1, v8, v2
	s_delay_alu instid0(VALU_DEP_1) | instskip(SKIP_1) | instid1(VALU_DEP_2)
	v_mul_f32_e32 v3, 0x3fb8aa3b, v1
	v_cmp_ngt_f32_e32 vcc_lo, 0xc2ce8ed0, v1
	v_fma_f32 v8, 0x3fb8aa3b, v1, -v3
	v_rndne_f32_e32 v11, v3
	s_delay_alu instid0(VALU_DEP_1) | instskip(NEXT) | instid1(VALU_DEP_1)
	v_dual_fmac_f32 v8, 0x32a5705f, v1 :: v_dual_sub_f32 v3, v3, v11
	v_add_f32_e32 v3, v3, v8
	v_cvt_i32_f32_e32 v8, v11
	s_delay_alu instid0(VALU_DEP_2) | instskip(SKIP_2) | instid1(VALU_DEP_1)
	v_exp_f32_e32 v3, v3
	s_waitcnt_depctr 0xfff
	v_ldexp_f32 v3, v3, v8
	v_cndmask_b32_e32 v3, 0, v3, vcc_lo
	v_cmp_nlt_f32_e32 vcc_lo, 0x42b17218, v1
	s_delay_alu instid0(VALU_DEP_2)
	v_cndmask_b32_e32 v1, 0x7f800000, v3, vcc_lo
	s_and_not1_b32 vcc_lo, exec_lo, s3
	ds_bpermute_b32 v3, v4, v1
	s_waitcnt lgkmcnt(0)
	v_add_f32_e32 v3, v1, v3
	ds_bpermute_b32 v4, v6, v3
	v_lshl_add_u32 v6, v0, 2, 0
	ds_store_b32 v6, v1 offset:128
	s_waitcnt lgkmcnt(1)
	v_add_f32_e32 v3, v3, v4
	ds_bpermute_b32 v4, v7, v3
	s_waitcnt lgkmcnt(0)
	v_add_f32_e32 v3, v3, v4
	ds_bpermute_b32 v4, v9, v3
	;; [unrolled: 3-line block ×3, first 2 shown]
	s_waitcnt lgkmcnt(0)
	v_add_f32_e32 v0, v3, v4
	s_cbranch_vccnz .LBB21_17
; %bb.16:
	s_lshl_b64 s[2:3], s[14:15], 2
	s_delay_alu instid0(SALU_CYCLE_1) | instskip(SKIP_4) | instid1(VALU_DEP_1)
	s_add_u32 s2, s8, s2
	s_addc_u32 s3, s9, s3
	s_load_b32 s2, s[2:3], 0x0
	s_waitcnt lgkmcnt(0)
	v_sub_f32_e32 v2, s2, v2
	v_mul_f32_e32 v3, 0x3fb8aa3b, v2
	s_delay_alu instid0(VALU_DEP_1) | instskip(SKIP_1) | instid1(VALU_DEP_2)
	v_fma_f32 v4, 0x3fb8aa3b, v2, -v3
	v_rndne_f32_e32 v6, v3
	v_fmac_f32_e32 v4, 0x32a5705f, v2
	s_delay_alu instid0(VALU_DEP_2) | instskip(NEXT) | instid1(VALU_DEP_1)
	v_sub_f32_e32 v3, v3, v6
	v_add_f32_e32 v3, v3, v4
	v_cvt_i32_f32_e32 v4, v6
	v_cmp_ngt_f32_e32 vcc_lo, 0xc2ce8ed0, v2
	s_delay_alu instid0(VALU_DEP_3) | instskip(SKIP_2) | instid1(VALU_DEP_1)
	v_exp_f32_e32 v3, v3
	s_waitcnt_depctr 0xfff
	v_ldexp_f32 v3, v3, v4
	v_cndmask_b32_e32 v3, 0, v3, vcc_lo
	v_cmp_nlt_f32_e32 vcc_lo, 0x42b17218, v2
	s_delay_alu instid0(VALU_DEP_2) | instskip(NEXT) | instid1(VALU_DEP_1)
	v_cndmask_b32_e32 v2, 0x7f800000, v3, vcc_lo
	v_add_f32_e32 v0, v0, v2
.LBB21_17:
	s_delay_alu instid0(VALU_DEP_1) | instskip(SKIP_1) | instid1(SALU_CYCLE_1)
	v_div_scale_f32 v2, null, v0, v0, 1.0
	s_lshl_b64 s[0:1], s[0:1], 2
	s_add_u32 s0, s10, s0
	s_delay_alu instid0(VALU_DEP_1) | instskip(SKIP_3) | instid1(VALU_DEP_1)
	v_rcp_f32_e32 v3, v2
	s_addc_u32 s1, s11, s1
	s_waitcnt_depctr 0xfff
	v_fma_f32 v4, -v2, v3, 1.0
	v_fmac_f32_e32 v3, v4, v3
	v_div_scale_f32 v4, vcc_lo, 1.0, v0, 1.0
	s_delay_alu instid0(VALU_DEP_1) | instskip(NEXT) | instid1(VALU_DEP_1)
	v_mul_f32_e32 v6, v4, v3
	v_fma_f32 v7, -v2, v6, v4
	s_delay_alu instid0(VALU_DEP_1) | instskip(NEXT) | instid1(VALU_DEP_1)
	v_fmac_f32_e32 v6, v7, v3
	v_fma_f32 v2, -v2, v6, v4
	s_delay_alu instid0(VALU_DEP_1) | instskip(NEXT) | instid1(VALU_DEP_1)
	v_div_fmas_f32 v2, v2, v3, v6
	v_div_fixup_f32 v0, v2, v0, 1.0
	s_delay_alu instid0(VALU_DEP_1)
	v_mul_f32_e32 v0, v1, v0
	global_store_b32 v5, v0, s[0:1]
	s_nop 0
	s_sendmsg sendmsg(MSG_DEALLOC_VGPRS)
	s_endpgm
	.section	.rodata,"a",@progbits
	.p2align	6, 0x0
	.amdhsa_kernel _ZL12soft_max_f32ILb1ELi32ELi32EfEvPKfPKT2_S1_Pf15soft_max_params
		.amdhsa_group_segment_fixed_size 0
		.amdhsa_private_segment_fixed_size 0
		.amdhsa_kernarg_size 416
		.amdhsa_user_sgpr_count 13
		.amdhsa_user_sgpr_dispatch_ptr 0
		.amdhsa_user_sgpr_queue_ptr 0
		.amdhsa_user_sgpr_kernarg_segment_ptr 1
		.amdhsa_user_sgpr_dispatch_id 0
		.amdhsa_user_sgpr_private_segment_size 0
		.amdhsa_wavefront_size32 1
		.amdhsa_uses_dynamic_stack 0
		.amdhsa_enable_private_segment 0
		.amdhsa_system_sgpr_workgroup_id_x 1
		.amdhsa_system_sgpr_workgroup_id_y 1
		.amdhsa_system_sgpr_workgroup_id_z 1
		.amdhsa_system_sgpr_workgroup_info 0
		.amdhsa_system_vgpr_workitem_id 0
		.amdhsa_next_free_vgpr 19
		.amdhsa_next_free_sgpr 28
		.amdhsa_reserve_vcc 1
		.amdhsa_float_round_mode_32 0
		.amdhsa_float_round_mode_16_64 0
		.amdhsa_float_denorm_mode_32 3
		.amdhsa_float_denorm_mode_16_64 3
		.amdhsa_dx10_clamp 1
		.amdhsa_ieee_mode 1
		.amdhsa_fp16_overflow 0
		.amdhsa_workgroup_processor_mode 1
		.amdhsa_memory_ordered 1
		.amdhsa_forward_progress 0
		.amdhsa_shared_vgpr_count 0
		.amdhsa_exception_fp_ieee_invalid_op 0
		.amdhsa_exception_fp_denorm_src 0
		.amdhsa_exception_fp_ieee_div_zero 0
		.amdhsa_exception_fp_ieee_overflow 0
		.amdhsa_exception_fp_ieee_underflow 0
		.amdhsa_exception_fp_ieee_inexact 0
		.amdhsa_exception_int_div_zero 0
	.end_amdhsa_kernel
	.section	.text._ZL12soft_max_f32ILb1ELi32ELi32EfEvPKfPKT2_S1_Pf15soft_max_params,"axG",@progbits,_ZL12soft_max_f32ILb1ELi32ELi32EfEvPKfPKT2_S1_Pf15soft_max_params,comdat
.Lfunc_end21:
	.size	_ZL12soft_max_f32ILb1ELi32ELi32EfEvPKfPKT2_S1_Pf15soft_max_params, .Lfunc_end21-_ZL12soft_max_f32ILb1ELi32ELi32EfEvPKfPKT2_S1_Pf15soft_max_params
                                        ; -- End function
	.section	.AMDGPU.csdata,"",@progbits
; Kernel info:
; codeLenInByte = 3872
; NumSgprs: 30
; NumVgprs: 19
; ScratchSize: 0
; MemoryBound: 0
; FloatMode: 240
; IeeeMode: 1
; LDSByteSize: 0 bytes/workgroup (compile time only)
; SGPRBlocks: 3
; VGPRBlocks: 2
; NumSGPRsForWavesPerEU: 30
; NumVGPRsForWavesPerEU: 19
; Occupancy: 16
; WaveLimiterHint : 1
; COMPUTE_PGM_RSRC2:SCRATCH_EN: 0
; COMPUTE_PGM_RSRC2:USER_SGPR: 13
; COMPUTE_PGM_RSRC2:TRAP_HANDLER: 0
; COMPUTE_PGM_RSRC2:TGID_X_EN: 1
; COMPUTE_PGM_RSRC2:TGID_Y_EN: 1
; COMPUTE_PGM_RSRC2:TGID_Z_EN: 1
; COMPUTE_PGM_RSRC2:TIDIG_COMP_CNT: 0
	.section	.text._ZL12soft_max_f32ILb1ELi0ELi0EfEvPKfPKT2_S1_Pf15soft_max_params,"axG",@progbits,_ZL12soft_max_f32ILb1ELi0ELi0EfEvPKfPKT2_S1_Pf15soft_max_params,comdat
	.globl	_ZL12soft_max_f32ILb1ELi0ELi0EfEvPKfPKT2_S1_Pf15soft_max_params ; -- Begin function _ZL12soft_max_f32ILb1ELi0ELi0EfEvPKfPKT2_S1_Pf15soft_max_params
	.p2align	8
	.type	_ZL12soft_max_f32ILb1ELi0ELi0EfEvPKfPKT2_S1_Pf15soft_max_params,@function
_ZL12soft_max_f32ILb1ELi0ELi0EfEvPKfPKT2_S1_Pf15soft_max_params: ; @_ZL12soft_max_f32ILb1ELi0ELi0EfEvPKfPKT2_S1_Pf15soft_max_params
; %bb.0:
	s_clause 0x1
	s_load_b256 s[20:27], s[0:1], 0x68
	s_load_b64 s[4:5], s[0:1], 0x88
	s_mov_b32 s19, 0
	s_add_u32 s6, s0, 0xa0
	s_mov_b32 s2, s19
	s_addc_u32 s7, s1, 0
	s_mov_b32 s18, s14
	s_mov_b32 s32, 0
	s_waitcnt lgkmcnt(0)
	s_mov_b32 s3, s27
	s_delay_alu instid0(SALU_CYCLE_1)
	s_cmp_lg_u64 s[2:3], 0
	s_cbranch_scc0 .LBB22_10
; %bb.1:
	s_ashr_i32 s2, s27, 31
	s_delay_alu instid0(SALU_CYCLE_1) | instskip(SKIP_2) | instid1(SALU_CYCLE_1)
	s_add_u32 s8, s26, s2
	s_mov_b32 s3, s2
	s_addc_u32 s9, s27, s2
	s_xor_b64 s[2:3], s[8:9], s[2:3]
	s_delay_alu instid0(SALU_CYCLE_1) | instskip(SKIP_3) | instid1(VALU_DEP_1)
	v_cvt_f32_u32_e32 v1, s2
	v_cvt_f32_u32_e32 v2, s3
	s_sub_u32 s10, 0, s2
	s_subb_u32 s11, 0, s3
	v_fmamk_f32 v1, v2, 0x4f800000, v1
	s_delay_alu instid0(VALU_DEP_1) | instskip(SKIP_2) | instid1(VALU_DEP_1)
	v_rcp_f32_e32 v1, v1
	s_waitcnt_depctr 0xfff
	v_mul_f32_e32 v1, 0x5f7ffffc, v1
	v_mul_f32_e32 v2, 0x2f800000, v1
	s_delay_alu instid0(VALU_DEP_1) | instskip(NEXT) | instid1(VALU_DEP_1)
	v_trunc_f32_e32 v2, v2
	v_fmamk_f32 v1, v2, 0xcf800000, v1
	v_cvt_u32_f32_e32 v2, v2
	s_delay_alu instid0(VALU_DEP_2) | instskip(NEXT) | instid1(VALU_DEP_2)
	v_cvt_u32_f32_e32 v1, v1
	v_readfirstlane_b32 s8, v2
	s_delay_alu instid0(VALU_DEP_2) | instskip(NEXT) | instid1(VALU_DEP_2)
	v_readfirstlane_b32 s9, v1
	s_mul_i32 s12, s10, s8
	s_delay_alu instid0(VALU_DEP_1)
	s_mul_hi_u32 s16, s10, s9
	s_mul_i32 s14, s11, s9
	s_add_i32 s12, s16, s12
	s_mul_i32 s17, s10, s9
	s_add_i32 s12, s12, s14
	s_mul_hi_u32 s16, s9, s17
	s_mul_hi_u32 s27, s8, s17
	s_mul_i32 s14, s8, s17
	s_mul_hi_u32 s17, s9, s12
	s_mul_i32 s9, s9, s12
	s_mul_hi_u32 s28, s8, s12
	s_add_u32 s9, s16, s9
	s_addc_u32 s16, 0, s17
	s_add_u32 s9, s9, s14
	s_mul_i32 s12, s8, s12
	s_addc_u32 s9, s16, s27
	s_addc_u32 s14, s28, 0
	s_add_u32 s9, s9, s12
	s_addc_u32 s12, 0, s14
	v_add_co_u32 v1, s9, v1, s9
	s_delay_alu instid0(VALU_DEP_1) | instskip(SKIP_1) | instid1(VALU_DEP_1)
	s_cmp_lg_u32 s9, 0
	s_addc_u32 s8, s8, s12
	v_readfirstlane_b32 s9, v1
	s_mul_i32 s12, s10, s8
	s_delay_alu instid0(VALU_DEP_1)
	s_mul_hi_u32 s14, s10, s9
	s_mul_i32 s11, s11, s9
	s_add_i32 s12, s14, s12
	s_mul_i32 s10, s10, s9
	s_add_i32 s12, s12, s11
	s_mul_hi_u32 s14, s8, s10
	s_mul_i32 s16, s8, s10
	s_mul_hi_u32 s10, s9, s10
	s_mul_hi_u32 s17, s9, s12
	s_mul_i32 s9, s9, s12
	s_mul_hi_u32 s11, s8, s12
	s_add_u32 s9, s10, s9
	s_addc_u32 s10, 0, s17
	s_add_u32 s9, s9, s16
	s_mul_i32 s12, s8, s12
	s_addc_u32 s9, s10, s14
	s_addc_u32 s10, s11, 0
	s_add_u32 s9, s9, s12
	s_addc_u32 s10, 0, s10
	v_add_co_u32 v1, s9, v1, s9
	s_delay_alu instid0(VALU_DEP_1) | instskip(SKIP_1) | instid1(VALU_DEP_1)
	s_cmp_lg_u32 s9, 0
	s_addc_u32 s8, s8, s10
	v_readfirstlane_b32 s9, v1
	s_mul_i32 s10, s18, s8
	s_mul_hi_u32 s8, s18, s8
	s_delay_alu instid0(VALU_DEP_1) | instskip(NEXT) | instid1(SALU_CYCLE_1)
	s_mul_hi_u32 s9, s18, s9
	s_add_u32 s9, s9, s10
	s_addc_u32 s8, 0, s8
	s_add_u32 s9, s9, 0
	s_addc_u32 s8, s8, 0
	s_addc_u32 s9, 0, 0
	s_add_u32 s8, s8, 0
	s_addc_u32 s9, 0, s9
	s_mul_hi_u32 s10, s2, s8
	s_mul_i32 s9, s2, s9
	s_mul_i32 s11, s3, s8
	;; [unrolled: 1-line block ×3, first 2 shown]
	s_add_i32 s9, s10, s9
	v_sub_co_u32 v1, s8, s18, s8
	s_add_i32 s9, s9, s11
	s_delay_alu instid0(SALU_CYCLE_1) | instskip(SKIP_1) | instid1(VALU_DEP_1)
	s_sub_i32 s10, 0, s9
	s_cmp_lg_u32 s8, 0
	v_sub_co_u32 v2, s11, v1, s2
	s_subb_u32 s10, s10, s3
	s_cmp_lg_u32 s11, 0
	s_subb_u32 s12, s10, 0
	s_delay_alu instid0(VALU_DEP_1)
	v_cmp_le_u32_e32 vcc_lo, s2, v2
	s_cmp_ge_u32 s12, s3
	s_cselect_b32 s14, -1, 0
	s_cmp_eq_u32 s12, s3
	v_cndmask_b32_e64 v3, 0, -1, vcc_lo
	s_cselect_b32 vcc_lo, -1, 0
	s_cmp_lg_u32 s11, 0
	v_sub_co_u32 v4, s11, v2, s2
	s_subb_u32 s10, s10, s3
	s_cmp_lg_u32 s11, 0
	v_cndmask_b32_e32 v3, s14, v3, vcc_lo
	s_subb_u32 s10, s10, 0
	s_cmp_lg_u32 s8, 0
	v_cmp_le_u32_e32 vcc_lo, s2, v1
	s_subb_u32 s8, 0, s9
	s_delay_alu instid0(SALU_CYCLE_1)
	s_cmp_ge_u32 s8, s3
	v_cndmask_b32_e64 v5, 0, -1, vcc_lo
	s_cselect_b32 s9, -1, 0
	s_cmp_eq_u32 s8, s3
	v_cmp_ne_u32_e32 vcc_lo, 0, v3
	v_mov_b32_e32 v3, s10
	s_cselect_b32 s2, -1, 0
	s_delay_alu instid0(SALU_CYCLE_1) | instskip(SKIP_1) | instid1(VALU_DEP_3)
	v_cndmask_b32_e64 v5, s9, v5, s2
	v_cndmask_b32_e32 v2, v2, v4, vcc_lo
	v_cndmask_b32_e32 v3, s12, v3, vcc_lo
	s_mov_b32 s2, s19
	s_delay_alu instid0(VALU_DEP_3) | instskip(NEXT) | instid1(VALU_DEP_3)
	v_cmp_ne_u32_e32 vcc_lo, 0, v5
	v_cndmask_b32_e32 v1, v1, v2, vcc_lo
	s_delay_alu instid0(VALU_DEP_3) | instskip(NEXT) | instid1(VALU_DEP_2)
	v_cndmask_b32_e32 v3, s8, v3, vcc_lo
	v_sub_co_u32 v1, vcc_lo, v1, 0
	s_delay_alu instid0(VALU_DEP_2)
	v_subrev_co_ci_u32_e32 v2, vcc_lo, 0, v3, vcc_lo
	s_and_not1_b32 vcc_lo, exec_lo, s2
	s_cbranch_vccnz .LBB22_3
.LBB22_2:
	v_cvt_f32_u32_e32 v1, s26
	s_sub_i32 s3, 0, s26
	s_delay_alu instid0(VALU_DEP_1) | instskip(SKIP_2) | instid1(VALU_DEP_1)
	v_rcp_iflag_f32_e32 v1, v1
	s_waitcnt_depctr 0xfff
	v_mul_f32_e32 v1, 0x4f7ffffe, v1
	v_cvt_u32_f32_e32 v1, v1
	s_delay_alu instid0(VALU_DEP_1) | instskip(NEXT) | instid1(VALU_DEP_1)
	v_readfirstlane_b32 s2, v1
	s_mul_i32 s3, s3, s2
	s_delay_alu instid0(SALU_CYCLE_1) | instskip(NEXT) | instid1(SALU_CYCLE_1)
	s_mul_hi_u32 s3, s2, s3
	s_add_i32 s2, s2, s3
	s_delay_alu instid0(SALU_CYCLE_1) | instskip(NEXT) | instid1(SALU_CYCLE_1)
	s_mul_hi_u32 s2, s18, s2
	s_mul_i32 s2, s2, s26
	s_delay_alu instid0(SALU_CYCLE_1) | instskip(NEXT) | instid1(SALU_CYCLE_1)
	s_sub_i32 s2, s18, s2
	s_sub_i32 s3, s2, s26
	s_cmp_ge_u32 s2, s26
	s_cselect_b32 s2, s3, s2
	s_mov_b32 s3, 0
	s_sub_i32 s8, s2, s26
	s_cmp_ge_u32 s2, s26
	s_cselect_b32 s2, s8, s2
	s_delay_alu instid0(SALU_CYCLE_1)
	v_dual_mov_b32 v1, s2 :: v_dual_mov_b32 v2, s3
.LBB22_3:
	s_load_b64 s[8:9], s[0:1], 0x90
	s_mov_b32 s10, 0
	s_mov_b32 s11, s5
	s_delay_alu instid0(SALU_CYCLE_1)
	s_cmp_lg_u64 s[10:11], 0
	s_cbranch_scc0 .LBB22_11
; %bb.4:
	s_ashr_i32 s2, s5, 31
	s_delay_alu instid0(SALU_CYCLE_1) | instskip(SKIP_2) | instid1(SALU_CYCLE_1)
	s_add_u32 s16, s4, s2
	s_mov_b32 s3, s2
	s_addc_u32 s17, s5, s2
	s_xor_b64 s[2:3], s[16:17], s[2:3]
	s_delay_alu instid0(SALU_CYCLE_1) | instskip(SKIP_3) | instid1(VALU_DEP_1)
	v_cvt_f32_u32_e32 v3, s2
	v_cvt_f32_u32_e32 v4, s3
	s_sub_u32 s12, 0, s2
	s_subb_u32 s14, 0, s3
	v_fmamk_f32 v3, v4, 0x4f800000, v3
	s_delay_alu instid0(VALU_DEP_1) | instskip(SKIP_2) | instid1(VALU_DEP_1)
	v_rcp_f32_e32 v3, v3
	s_waitcnt_depctr 0xfff
	v_mul_f32_e32 v3, 0x5f7ffffc, v3
	v_mul_f32_e32 v4, 0x2f800000, v3
	s_delay_alu instid0(VALU_DEP_1) | instskip(NEXT) | instid1(VALU_DEP_1)
	v_trunc_f32_e32 v4, v4
	v_fmamk_f32 v3, v4, 0xcf800000, v3
	v_cvt_u32_f32_e32 v4, v4
	s_delay_alu instid0(VALU_DEP_2) | instskip(NEXT) | instid1(VALU_DEP_2)
	v_cvt_u32_f32_e32 v3, v3
	v_readfirstlane_b32 s5, v4
	s_delay_alu instid0(VALU_DEP_2) | instskip(NEXT) | instid1(VALU_DEP_2)
	v_readfirstlane_b32 s11, v3
	s_mul_i32 s16, s12, s5
	s_delay_alu instid0(VALU_DEP_1)
	s_mul_hi_u32 s26, s12, s11
	s_mul_i32 s17, s14, s11
	s_add_i32 s16, s26, s16
	s_mul_i32 s27, s12, s11
	s_add_i32 s16, s16, s17
	s_mul_hi_u32 s26, s11, s27
	s_mul_hi_u32 s28, s5, s27
	s_mul_i32 s17, s5, s27
	s_mul_hi_u32 s27, s11, s16
	s_mul_i32 s11, s11, s16
	s_mul_hi_u32 s29, s5, s16
	s_add_u32 s11, s26, s11
	s_addc_u32 s26, 0, s27
	s_add_u32 s11, s11, s17
	s_mul_i32 s16, s5, s16
	s_addc_u32 s11, s26, s28
	s_addc_u32 s17, s29, 0
	s_add_u32 s11, s11, s16
	s_addc_u32 s16, 0, s17
	v_add_co_u32 v3, s11, v3, s11
	s_delay_alu instid0(VALU_DEP_1) | instskip(SKIP_1) | instid1(VALU_DEP_1)
	s_cmp_lg_u32 s11, 0
	s_addc_u32 s5, s5, s16
	v_readfirstlane_b32 s11, v3
	s_mul_i32 s16, s12, s5
	s_delay_alu instid0(VALU_DEP_1)
	s_mul_hi_u32 s17, s12, s11
	s_mul_i32 s14, s14, s11
	s_add_i32 s16, s17, s16
	s_mul_i32 s12, s12, s11
	s_add_i32 s16, s16, s14
	s_mul_hi_u32 s17, s5, s12
	s_mul_i32 s26, s5, s12
	s_mul_hi_u32 s12, s11, s12
	s_mul_hi_u32 s27, s11, s16
	s_mul_i32 s11, s11, s16
	s_mul_hi_u32 s14, s5, s16
	s_add_u32 s11, s12, s11
	s_addc_u32 s12, 0, s27
	s_add_u32 s11, s11, s26
	s_mul_i32 s16, s5, s16
	s_addc_u32 s11, s12, s17
	s_addc_u32 s12, s14, 0
	s_add_u32 s11, s11, s16
	s_addc_u32 s12, 0, s12
	v_add_co_u32 v3, s11, v3, s11
	s_delay_alu instid0(VALU_DEP_1) | instskip(SKIP_1) | instid1(VALU_DEP_1)
	s_cmp_lg_u32 s11, 0
	s_addc_u32 s5, s5, s12
	v_readfirstlane_b32 s11, v3
	s_mul_i32 s12, s15, s5
	s_mul_hi_u32 s5, s15, s5
	s_delay_alu instid0(VALU_DEP_1) | instskip(NEXT) | instid1(SALU_CYCLE_1)
	s_mul_hi_u32 s11, s15, s11
	s_add_u32 s11, s11, s12
	s_addc_u32 s5, 0, s5
	s_add_u32 s11, s11, 0
	s_addc_u32 s5, s5, 0
	s_addc_u32 s11, 0, 0
	s_add_u32 s5, s5, 0
	s_addc_u32 s11, 0, s11
	s_mul_hi_u32 s12, s2, s5
	s_mul_i32 s11, s2, s11
	s_mul_i32 s14, s3, s5
	;; [unrolled: 1-line block ×3, first 2 shown]
	s_add_i32 s11, s12, s11
	v_sub_co_u32 v3, s5, s15, s5
	s_add_i32 s11, s11, s14
	s_delay_alu instid0(SALU_CYCLE_1) | instskip(SKIP_1) | instid1(VALU_DEP_1)
	s_sub_i32 s12, 0, s11
	s_cmp_lg_u32 s5, 0
	v_sub_co_u32 v4, s14, v3, s2
	s_subb_u32 s12, s12, s3
	s_cmp_lg_u32 s14, 0
	s_subb_u32 s16, s12, 0
	s_delay_alu instid0(VALU_DEP_1)
	v_cmp_le_u32_e32 vcc_lo, s2, v4
	s_cmp_ge_u32 s16, s3
	s_cselect_b32 s17, -1, 0
	s_cmp_eq_u32 s16, s3
	v_cndmask_b32_e64 v5, 0, -1, vcc_lo
	s_cselect_b32 vcc_lo, -1, 0
	s_cmp_lg_u32 s14, 0
	v_sub_co_u32 v6, s14, v4, s2
	s_subb_u32 s12, s12, s3
	s_cmp_lg_u32 s14, 0
	v_cndmask_b32_e32 v5, s17, v5, vcc_lo
	s_subb_u32 s12, s12, 0
	s_cmp_lg_u32 s5, 0
	v_cmp_le_u32_e32 vcc_lo, s2, v3
	s_subb_u32 s5, 0, s11
	s_delay_alu instid0(SALU_CYCLE_1)
	s_cmp_ge_u32 s5, s3
	v_cndmask_b32_e64 v7, 0, -1, vcc_lo
	s_cselect_b32 s11, -1, 0
	s_cmp_eq_u32 s5, s3
	v_cmp_ne_u32_e32 vcc_lo, 0, v5
	v_mov_b32_e32 v5, s12
	s_cselect_b32 s2, -1, 0
	s_delay_alu instid0(SALU_CYCLE_1) | instskip(SKIP_1) | instid1(VALU_DEP_3)
	v_cndmask_b32_e64 v7, s11, v7, s2
	v_cndmask_b32_e32 v4, v4, v6, vcc_lo
	v_cndmask_b32_e32 v5, s16, v5, vcc_lo
	s_delay_alu instid0(VALU_DEP_3) | instskip(NEXT) | instid1(VALU_DEP_3)
	v_cmp_ne_u32_e32 vcc_lo, 0, v7
	v_cndmask_b32_e32 v3, v3, v4, vcc_lo
	s_delay_alu instid0(VALU_DEP_3) | instskip(NEXT) | instid1(VALU_DEP_2)
	v_cndmask_b32_e32 v5, s5, v5, vcc_lo
	v_sub_co_u32 v3, vcc_lo, v3, 0
	s_delay_alu instid0(VALU_DEP_2)
	v_subrev_co_ci_u32_e32 v4, vcc_lo, 0, v5, vcc_lo
	s_and_not1_b32 vcc_lo, exec_lo, s10
	s_cbranch_vccnz .LBB22_6
.LBB22_5:
	v_cvt_f32_u32_e32 v3, s4
	s_sub_i32 s3, 0, s4
	s_delay_alu instid0(VALU_DEP_1) | instskip(SKIP_2) | instid1(VALU_DEP_1)
	v_rcp_iflag_f32_e32 v3, v3
	s_waitcnt_depctr 0xfff
	v_mul_f32_e32 v3, 0x4f7ffffe, v3
	v_cvt_u32_f32_e32 v3, v3
	s_delay_alu instid0(VALU_DEP_1) | instskip(NEXT) | instid1(VALU_DEP_1)
	v_readfirstlane_b32 s2, v3
	s_mul_i32 s3, s3, s2
	s_delay_alu instid0(SALU_CYCLE_1) | instskip(NEXT) | instid1(SALU_CYCLE_1)
	s_mul_hi_u32 s3, s2, s3
	s_add_i32 s2, s2, s3
	s_delay_alu instid0(SALU_CYCLE_1) | instskip(NEXT) | instid1(SALU_CYCLE_1)
	s_mul_hi_u32 s2, s15, s2
	s_mul_i32 s2, s2, s4
	s_delay_alu instid0(SALU_CYCLE_1) | instskip(NEXT) | instid1(SALU_CYCLE_1)
	s_sub_i32 s2, s15, s2
	s_sub_i32 s3, s2, s4
	s_cmp_ge_u32 s2, s4
	s_cselect_b32 s2, s3, s2
	s_mov_b32 s3, 0
	s_sub_i32 s5, s2, s4
	s_cmp_ge_u32 s2, s4
	s_cselect_b32 s2, s5, s2
	s_delay_alu instid0(SALU_CYCLE_1)
	v_dual_mov_b32 v4, s3 :: v_dual_mov_b32 v3, s2
.LBB22_6:
	s_clause 0x1
	s_load_b64 s[26:27], s[0:1], 0x30
	s_load_b64 s[10:11], s[0:1], 0xa0
	s_waitcnt lgkmcnt(0)
	v_cmp_le_f32_e64 s2, s9, 0
	v_mov_b32_e32 v5, 1.0
	s_delay_alu instid0(VALU_DEP_2)
	s_and_b32 vcc_lo, exec_lo, s2
	s_cbranch_vccnz .LBB22_8
; %bb.7:
	s_clause 0x1
	s_load_b32 s4, s[0:1], 0x28
	s_load_b64 s[2:3], s[0:1], 0x98
	s_add_i32 s9, s18, 1
	s_waitcnt lgkmcnt(0)
	s_sub_i32 s5, s18, s4
	v_mov_b32_e32 v5, s2
	s_lshl_b32 s5, s5, 1
	s_delay_alu instid0(SALU_CYCLE_1)
	s_or_b32 s2, s5, 1
	s_cmp_lt_u32 s18, s4
	s_cselect_b32 vcc_lo, -1, 0
	v_cndmask_b32_e32 v7, s3, v5, vcc_lo
	s_and_b32 s3, vcc_lo, exec_lo
	s_cselect_b32 s2, s9, s2
	s_mov_b32 s3, 0x3e76c4e1
	v_cvt_f32_i32_e32 v5, s2
	v_cmp_neq_f32_e32 vcc_lo, 1.0, v7
	s_delay_alu instid0(VALU_DEP_2) | instskip(NEXT) | instid1(VALU_DEP_1)
	v_cndmask_b32_e32 v8, 1.0, v5, vcc_lo
	v_cmp_eq_f32_e32 vcc_lo, 0, v8
	v_cndmask_b32_e64 v9, |v7|, 1.0, vcc_lo
	s_delay_alu instid0(VALU_DEP_1) | instskip(NEXT) | instid1(VALU_DEP_1)
	v_frexp_mant_f32_e32 v5, v9
	v_cmp_gt_f32_e64 s2, 0x3f2aaaab, v5
	s_delay_alu instid0(VALU_DEP_1) | instskip(NEXT) | instid1(VALU_DEP_1)
	v_cndmask_b32_e64 v6, 1.0, 2.0, s2
	v_mul_f32_e32 v5, v5, v6
	s_delay_alu instid0(VALU_DEP_1) | instskip(SKIP_1) | instid1(VALU_DEP_2)
	v_add_f32_e32 v6, 1.0, v5
	v_add_f32_e32 v11, -1.0, v5
	v_rcp_f32_e32 v10, v6
	s_waitcnt_depctr 0xfff
	v_mul_f32_e32 v12, v11, v10
	s_delay_alu instid0(VALU_DEP_1) | instskip(NEXT) | instid1(VALU_DEP_1)
	v_dual_add_f32 v13, -1.0, v6 :: v_dual_mul_f32 v14, v6, v12
	v_sub_f32_e32 v5, v5, v13
	v_cndmask_b32_e64 v7, v7, 1.0, vcc_lo
	s_delay_alu instid0(VALU_DEP_3) | instskip(NEXT) | instid1(VALU_DEP_2)
	v_fma_f32 v6, v12, v6, -v14
	v_cmp_eq_f32_e64 s4, 0, v7
	s_delay_alu instid0(VALU_DEP_2) | instskip(NEXT) | instid1(VALU_DEP_1)
	v_fmac_f32_e32 v6, v12, v5
	v_add_f32_e32 v5, v14, v6
	s_delay_alu instid0(VALU_DEP_1) | instskip(NEXT) | instid1(VALU_DEP_1)
	v_dual_sub_f32 v14, v5, v14 :: v_dual_sub_f32 v13, v11, v5
	v_dual_sub_f32 v6, v14, v6 :: v_dual_sub_f32 v11, v11, v13
	s_delay_alu instid0(VALU_DEP_1) | instskip(NEXT) | instid1(VALU_DEP_1)
	v_sub_f32_e32 v5, v11, v5
	v_add_f32_e32 v5, v6, v5
	s_delay_alu instid0(VALU_DEP_1) | instskip(NEXT) | instid1(VALU_DEP_1)
	v_add_f32_e32 v5, v13, v5
	v_mul_f32_e32 v5, v10, v5
	s_delay_alu instid0(VALU_DEP_1) | instskip(NEXT) | instid1(VALU_DEP_1)
	v_add_f32_e32 v10, v12, v5
	v_sub_f32_e32 v6, v10, v12
	v_mul_f32_e32 v11, v10, v10
	s_delay_alu instid0(VALU_DEP_2) | instskip(NEXT) | instid1(VALU_DEP_2)
	v_sub_f32_e32 v12, v5, v6
	v_fma_f32 v13, v10, v10, -v11
	s_delay_alu instid0(VALU_DEP_2) | instskip(NEXT) | instid1(VALU_DEP_1)
	v_add_f32_e32 v5, v12, v12
	v_fmac_f32_e32 v13, v10, v5
	v_cvt_f64_f32_e32 v[5:6], v9
	s_delay_alu instid0(VALU_DEP_2) | instskip(NEXT) | instid1(VALU_DEP_1)
	v_add_f32_e32 v14, v11, v13
	v_fmaak_f32 v15, s3, v14, 0x3e91f4c4
	v_sub_f32_e32 v11, v14, v11
	v_mul_f32_e32 v18, v10, v14
	s_delay_alu instid0(VALU_DEP_3) | instskip(NEXT) | instid1(VALU_DEP_3)
	v_fmaak_f32 v15, v14, v15, 0x3ecccdef
	v_sub_f32_e32 v11, v13, v11
	s_delay_alu instid0(VALU_DEP_2) | instskip(NEXT) | instid1(VALU_DEP_1)
	v_mul_f32_e32 v16, v14, v15
	v_fma_f32 v13, v14, v15, -v16
	s_delay_alu instid0(VALU_DEP_1) | instskip(NEXT) | instid1(VALU_DEP_1)
	v_fmac_f32_e32 v13, v11, v15
	v_add_f32_e32 v15, v16, v13
	v_frexp_exp_i32_f64_e32 v5, v[5:6]
	s_delay_alu instid0(VALU_DEP_2) | instskip(NEXT) | instid1(VALU_DEP_1)
	v_sub_f32_e32 v16, v15, v16
	v_sub_f32_e32 v6, v13, v16
	v_fma_f32 v16, v14, v10, -v18
	s_delay_alu instid0(VALU_DEP_2) | instskip(NEXT) | instid1(VALU_DEP_2)
	v_add_f32_e32 v6, 0x31739010, v6
	v_dual_add_f32 v17, 0x3f2aaaaa, v15 :: v_dual_fmac_f32 v16, v14, v12
	v_ldexp_f32 v12, v12, 1
	s_delay_alu instid0(VALU_DEP_2) | instskip(NEXT) | instid1(VALU_DEP_1)
	v_dual_add_f32 v13, 0xbf2aaaaa, v17 :: v_dual_fmac_f32 v16, v11, v10
	v_sub_f32_e32 v13, v15, v13
	s_delay_alu instid0(VALU_DEP_1) | instskip(NEXT) | instid1(VALU_DEP_3)
	v_add_f32_e32 v6, v6, v13
	v_add_f32_e32 v13, v18, v16
	s_delay_alu instid0(VALU_DEP_2) | instskip(NEXT) | instid1(VALU_DEP_1)
	v_add_f32_e32 v11, v17, v6
	v_sub_f32_e32 v14, v17, v11
	s_delay_alu instid0(VALU_DEP_3) | instskip(SKIP_2) | instid1(VALU_DEP_4)
	v_mul_f32_e32 v15, v13, v11
	v_sub_f32_e32 v17, v13, v18
	v_subrev_co_ci_u32_e64 v5, s2, 0, v5, s2
	v_add_f32_e32 v6, v6, v14
	s_delay_alu instid0(VALU_DEP_4) | instskip(NEXT) | instid1(VALU_DEP_4)
	v_fma_f32 v14, v13, v11, -v15
	v_sub_f32_e32 v16, v16, v17
	s_delay_alu instid0(VALU_DEP_4) | instskip(NEXT) | instid1(VALU_DEP_3)
	v_cvt_f32_i32_e32 v5, v5
	v_fmac_f32_e32 v14, v13, v6
	v_ldexp_f32 v6, v10, 1
	s_delay_alu instid0(VALU_DEP_2) | instskip(NEXT) | instid1(VALU_DEP_1)
	v_fmac_f32_e32 v14, v16, v11
	v_add_f32_e32 v10, v15, v14
	s_delay_alu instid0(VALU_DEP_1) | instskip(NEXT) | instid1(VALU_DEP_1)
	v_add_f32_e32 v11, v6, v10
	v_dual_sub_f32 v6, v11, v6 :: v_dual_sub_f32 v13, v10, v15
	s_delay_alu instid0(VALU_DEP_1) | instskip(NEXT) | instid1(VALU_DEP_2)
	v_sub_f32_e32 v6, v10, v6
	v_sub_f32_e32 v13, v14, v13
	s_delay_alu instid0(VALU_DEP_1) | instskip(NEXT) | instid1(VALU_DEP_1)
	v_add_f32_e32 v10, v12, v13
	v_dual_mul_f32 v15, 0x3f317218, v5 :: v_dual_add_f32 v6, v10, v6
	s_delay_alu instid0(VALU_DEP_1) | instskip(NEXT) | instid1(VALU_DEP_2)
	v_fma_f32 v14, 0x3f317218, v5, -v15
	v_add_f32_e32 v12, v11, v6
	s_delay_alu instid0(VALU_DEP_1) | instskip(NEXT) | instid1(VALU_DEP_1)
	v_sub_f32_e32 v11, v12, v11
	v_dual_fmamk_f32 v5, v5, 0xb102e308, v14 :: v_dual_sub_f32 v6, v6, v11
	s_delay_alu instid0(VALU_DEP_1) | instskip(NEXT) | instid1(VALU_DEP_1)
	v_add_f32_e32 v10, v15, v5
	v_add_f32_e32 v13, v10, v12
	s_delay_alu instid0(VALU_DEP_1) | instskip(NEXT) | instid1(VALU_DEP_1)
	v_dual_sub_f32 v15, v10, v15 :: v_dual_sub_f32 v14, v13, v10
	v_sub_f32_e32 v16, v13, v14
	s_delay_alu instid0(VALU_DEP_2) | instskip(NEXT) | instid1(VALU_DEP_2)
	v_sub_f32_e32 v5, v5, v15
	v_dual_sub_f32 v11, v12, v14 :: v_dual_sub_f32 v10, v10, v16
	s_delay_alu instid0(VALU_DEP_2) | instskip(NEXT) | instid1(VALU_DEP_2)
	v_add_f32_e32 v12, v5, v6
	v_add_f32_e32 v10, v11, v10
	s_delay_alu instid0(VALU_DEP_1) | instskip(NEXT) | instid1(VALU_DEP_1)
	v_add_f32_e32 v10, v12, v10
	v_dual_sub_f32 v11, v12, v5 :: v_dual_add_f32 v14, v13, v10
	s_delay_alu instid0(VALU_DEP_1) | instskip(SKIP_1) | instid1(VALU_DEP_3)
	v_sub_f32_e32 v12, v12, v11
	v_sub_f32_e32 v6, v6, v11
	;; [unrolled: 1-line block ×3, first 2 shown]
	s_delay_alu instid0(VALU_DEP_3) | instskip(NEXT) | instid1(VALU_DEP_1)
	v_sub_f32_e32 v5, v5, v12
	v_add_f32_e32 v5, v6, v5
	s_delay_alu instid0(VALU_DEP_3) | instskip(NEXT) | instid1(VALU_DEP_1)
	v_sub_f32_e32 v6, v10, v11
	v_add_f32_e32 v5, v5, v6
	s_delay_alu instid0(VALU_DEP_1) | instskip(NEXT) | instid1(VALU_DEP_1)
	v_add_f32_e32 v6, v14, v5
	v_mul_f32_e32 v11, v8, v6
	v_sub_f32_e32 v10, v6, v14
	s_delay_alu instid0(VALU_DEP_2) | instskip(NEXT) | instid1(VALU_DEP_2)
	v_fma_f32 v6, v8, v6, -v11
	v_sub_f32_e32 v5, v5, v10
	v_cmp_class_f32_e64 s2, v11, 0x204
	s_delay_alu instid0(VALU_DEP_2) | instskip(NEXT) | instid1(VALU_DEP_1)
	v_fmac_f32_e32 v6, v8, v5
	v_add_f32_e32 v5, v11, v6
	s_delay_alu instid0(VALU_DEP_1) | instskip(NEXT) | instid1(VALU_DEP_1)
	v_cndmask_b32_e64 v10, v5, v11, s2
	v_cmp_eq_f32_e64 s2, 0x42b17218, v10
	s_delay_alu instid0(VALU_DEP_1) | instskip(SKIP_1) | instid1(VALU_DEP_2)
	v_cndmask_b32_e64 v12, 0, 0x37000000, s2
	v_cmp_neq_f32_e64 s2, 0x7f800000, |v10|
	v_sub_f32_e32 v13, v10, v12
	v_trunc_f32_e32 v10, v8
	s_delay_alu instid0(VALU_DEP_2) | instskip(NEXT) | instid1(VALU_DEP_1)
	v_mul_f32_e32 v14, 0x3fb8aa3b, v13
	v_fma_f32 v15, 0x3fb8aa3b, v13, -v14
	v_rndne_f32_e32 v16, v14
	s_delay_alu instid0(VALU_DEP_1) | instskip(NEXT) | instid1(VALU_DEP_1)
	v_dual_fmamk_f32 v15, v13, 0x32a5705f, v15 :: v_dual_sub_f32 v14, v14, v16
	v_add_f32_e32 v14, v14, v15
	v_sub_f32_e32 v5, v5, v11
	v_cvt_i32_f32_e32 v11, v16
	s_delay_alu instid0(VALU_DEP_3) | instskip(NEXT) | instid1(VALU_DEP_2)
	v_exp_f32_e32 v14, v14
	v_sub_f32_e32 v5, v6, v5
	s_delay_alu instid0(VALU_DEP_1)
	v_cndmask_b32_e64 v5, 0, v5, s2
	v_cmp_ngt_f32_e64 s2, 0xc2ce8ed0, v13
	s_waitcnt_depctr 0xfff
	v_ldexp_f32 v6, v14, v11
	v_mul_f32_e32 v11, 0.5, v8
	v_add_f32_e32 v5, v12, v5
	s_delay_alu instid0(VALU_DEP_3) | instskip(NEXT) | instid1(VALU_DEP_3)
	v_cndmask_b32_e64 v6, 0, v6, s2
	v_trunc_f32_e32 v14, v11
	v_cmp_nlt_f32_e64 s2, 0x42b17218, v13
	s_delay_alu instid0(VALU_DEP_2) | instskip(NEXT) | instid1(VALU_DEP_2)
	v_cmp_neq_f32_e64 s3, v14, v11
	v_cndmask_b32_e64 v6, 0x7f800000, v6, s2
	v_cmp_eq_f32_e64 s2, v10, v8
	s_delay_alu instid0(VALU_DEP_2) | instskip(NEXT) | instid1(VALU_DEP_2)
	v_fma_f32 v5, v6, v5, v6
	s_and_b32 vcc_lo, s2, s3
	v_cmp_class_f32_e64 s3, v6, 0x204
	v_cndmask_b32_e32 v10, 1.0, v7, vcc_lo
	s_delay_alu instid0(VALU_DEP_2) | instskip(SKIP_1) | instid1(VALU_DEP_2)
	v_cndmask_b32_e64 v5, v5, v6, s3
	v_cmp_gt_f32_e64 s3, 0, v8
	v_bfi_b32 v5, 0x7fffffff, v5, v10
	v_cndmask_b32_e32 v10, 0, v7, vcc_lo
	s_delay_alu instid0(VALU_DEP_3)
	s_xor_b32 s3, s3, s4
	v_cmp_eq_f32_e32 vcc_lo, 0x7f800000, v9
	v_cndmask_b32_e64 v6, 0x7f800000, 0, s3
	v_cndmask_b32_e64 v8, 0x7fc00000, v5, s2
	v_cmp_gt_f32_e64 s2, 0, v7
	s_or_b32 vcc_lo, vcc_lo, s4
	s_delay_alu instid0(VALU_DEP_3) | instskip(NEXT) | instid1(VALU_DEP_2)
	v_bfi_b32 v6, 0x7fffffff, v6, v10
	v_cndmask_b32_e64 v5, v5, v8, s2
	s_delay_alu instid0(VALU_DEP_1) | instskip(SKIP_1) | instid1(VALU_DEP_2)
	v_cndmask_b32_e32 v5, v5, v6, vcc_lo
	v_cmp_o_f32_e32 vcc_lo, v7, v7
	v_cndmask_b32_e32 v5, 0x7fc00000, v5, vcc_lo
.LBB22_8:
	s_load_b256 s[36:43], s[0:1], 0x0
	s_load_b32 s2, s[6:7], 0xc
	s_waitcnt lgkmcnt(0)
	s_cmp_lg_u64 s[40:41], 0
	s_cselect_b32 s34, -1, 0
	s_cmp_eq_u64 s[40:41], 0
	s_cbranch_scc1 .LBB22_12
; %bb.9:
	s_lshl_b64 s[4:5], s[18:19], 2
	s_delay_alu instid0(SALU_CYCLE_1)
	s_add_u32 s4, s40, s4
	s_addc_u32 s5, s41, s5
	s_load_b32 s3, s[4:5], 0x0
	s_branch .LBB22_13
.LBB22_10:
                                        ; implicit-def: $vgpr1_vgpr2
	s_branch .LBB22_2
.LBB22_11:
                                        ; implicit-def: $vgpr3_vgpr4
	s_branch .LBB22_5
.LBB22_12:
	s_mov_b32 s3, 0xff800000
.LBB22_13:
	s_mul_i32 s4, s11, s15
	s_bfe_i64 s[28:29], s[26:27], 0x200000
	s_add_i32 s4, s4, s18
	s_and_b32 s17, 0xffff, s2
	s_mul_i32 s27, s4, s10
	s_waitcnt lgkmcnt(0)
	v_mov_b32_e32 v6, s3
	s_add_i32 s27, s27, s13
	s_cmp_gt_i32 s26, 0
	s_mov_b32 s4, 0
	s_cselect_b32 s29, -1, 0
	s_cmp_lt_i32 s26, 1
	s_cbranch_scc1 .LBB22_21
; %bb.14:
	v_mul_lo_u32 v6, v1, s23
	v_mul_hi_u32 v7, v1, s22
	v_mul_lo_u32 v8, v3, s25
	v_mul_hi_u32 v9, v3, s24
	v_mul_lo_u32 v2, v2, s22
	v_mul_lo_u32 v1, v1, s22
	;; [unrolled: 1-line block ×4, first 2 shown]
	s_mul_i32 s2, s21, s13
	v_add_nc_u32_e32 v6, v7, v6
	s_mul_hi_u32 s5, s20, s13
	v_add_nc_u32_e32 v7, v9, v8
	s_mul_i32 s6, s20, s13
	s_add_i32 s5, s5, s2
	v_add_nc_u32_e32 v2, v6, v2
	v_add_co_u32 v1, vcc_lo, v1, s6
	v_add_nc_u32_e32 v4, v7, v4
	s_cmp_lg_u64 s[38:39], 0
	s_delay_alu instid0(VALU_DEP_3) | instskip(NEXT) | instid1(VALU_DEP_3)
	v_add_co_ci_u32_e32 v2, vcc_lo, s5, v2, vcc_lo
	v_add_co_u32 v1, vcc_lo, v1, v3
	s_cselect_b32 s2, -1, 0
	s_delay_alu instid0(VALU_DEP_2) | instskip(SKIP_3) | instid1(VALU_DEP_1)
	v_add_co_ci_u32_e32 v2, vcc_lo, v2, v4, vcc_lo
	s_mul_hi_i32 s7, s27, s28
	s_mul_i32 s6, s27, s28
	s_lshl_b32 s5, s17, 2
	v_lshrrev_b64 v[1:2], 2, v[1:2]
	s_lshl_b64 s[6:7], s[6:7], 2
	s_mov_b32 s9, 0
	s_add_u32 s6, s36, s6
	s_addc_u32 s7, s37, s7
	v_mov_b32_e32 v6, s3
	v_cndmask_b32_e64 v4, 0, v2, s2
	v_mov_b32_e32 v2, 0
	v_cndmask_b32_e64 v3, 0, v1, s2
	v_lshlrev_b32_e32 v1, 2, v0
	s_delay_alu instid0(VALU_DEP_2) | instskip(NEXT) | instid1(VALU_DEP_2)
	v_lshlrev_b64 v[7:8], 2, v[3:4]
	v_add3_u32 v3, v1, 0, 0x80
	s_delay_alu instid0(VALU_DEP_2) | instskip(NEXT) | instid1(VALU_DEP_3)
	v_add_co_u32 v4, vcc_lo, s38, v7
	v_add_co_ci_u32_e32 v7, vcc_lo, s39, v8, vcc_lo
	s_set_inst_prefetch_distance 0x1
	s_branch .LBB22_17
	.p2align	6
.LBB22_15:                              ;   in Loop: Header=BB22_17 Depth=1
	s_waitcnt vmcnt(0)
	s_delay_alu instid0(VALU_DEP_1)
	v_dual_fmac_f32 v9, s8, v8 :: v_dual_max_f32 v6, v6, v6
	ds_store_b32 v3, v9
	v_max_f32_e32 v6, v6, v9
.LBB22_16:                              ;   in Loop: Header=BB22_17 Depth=1
	s_or_b32 exec_lo, exec_lo, s10
	s_add_i32 s9, s9, s17
	v_add_co_u32 v1, vcc_lo, v1, s5
	s_cmp_ge_i32 s9, s26
	v_add_nc_u32_e32 v3, s5, v3
	s_cselect_b32 s10, -1, 0
	s_xor_b32 s3, s3, -1
	v_add_co_ci_u32_e32 v2, vcc_lo, 0, v2, vcc_lo
	s_or_b32 s3, s3, s10
	s_delay_alu instid0(SALU_CYCLE_1) | instskip(NEXT) | instid1(SALU_CYCLE_1)
	s_and_b32 s3, exec_lo, s3
	s_or_b32 s4, s3, s4
	s_delay_alu instid0(SALU_CYCLE_1)
	s_and_not1_b32 exec_lo, exec_lo, s4
	s_cbranch_execz .LBB22_20
.LBB22_17:                              ; =>This Inner Loop Header: Depth=1
	v_add_nc_u32_e32 v8, s9, v0
	s_delay_alu instid0(VALU_DEP_1) | instskip(NEXT) | instid1(VALU_DEP_1)
	v_cmp_gt_i32_e64 s3, s26, v8
	s_and_saveexec_b32 s10, s3
	s_cbranch_execz .LBB22_16
; %bb.18:                               ;   in Loop: Header=BB22_17 Depth=1
	v_add_co_u32 v8, vcc_lo, s6, v1
	v_add_co_ci_u32_e32 v9, vcc_lo, s7, v2, vcc_lo
	s_and_not1_b32 vcc_lo, exec_lo, s2
	global_load_b32 v8, v[8:9], off
	v_mov_b32_e32 v9, 0
	s_cbranch_vccnz .LBB22_15
; %bb.19:                               ;   in Loop: Header=BB22_17 Depth=1
	v_add_co_u32 v9, vcc_lo, v4, v1
	v_add_co_ci_u32_e32 v10, vcc_lo, v7, v2, vcc_lo
	global_load_b32 v9, v[9:10], off
	s_waitcnt vmcnt(0)
	v_mul_f32_e32 v9, v5, v9
	s_branch .LBB22_15
.LBB22_20:
	s_set_inst_prefetch_distance 0x2
	s_or_b32 exec_lo, exec_lo, s4
.LBB22_21:
	v_mbcnt_lo_u32_b32 v1, -1, 0
	s_cmp_gt_u32 s17, 32
	s_mov_b32 s22, 0
	s_cselect_b32 s23, -1, 0
	s_cmp_lt_u32 s17, 33
	v_xor_b32_e32 v2, 16, v1
	v_xor_b32_e32 v3, 8, v1
	s_mov_b32 s24, -1
	s_delay_alu instid0(VALU_DEP_2) | instskip(SKIP_1) | instid1(VALU_DEP_3)
	v_cmp_gt_i32_e32 vcc_lo, 32, v2
	v_cndmask_b32_e32 v2, v1, v2, vcc_lo
	v_cmp_gt_i32_e32 vcc_lo, 32, v3
	v_max_f32_e32 v4, v6, v6
	s_delay_alu instid0(VALU_DEP_3) | instskip(SKIP_4) | instid1(VALU_DEP_1)
	v_lshlrev_b32_e32 v41, 2, v2
	v_cndmask_b32_e32 v3, v1, v3, vcc_lo
	ds_bpermute_b32 v2, v41, v6
	s_waitcnt lgkmcnt(0)
	v_max_f32_e32 v2, v2, v2
	v_max_f32_e32 v2, v4, v2
	v_xor_b32_e32 v4, 4, v1
	s_delay_alu instid0(VALU_DEP_1) | instskip(SKIP_1) | instid1(VALU_DEP_1)
	v_cmp_gt_i32_e32 vcc_lo, 32, v4
	v_cndmask_b32_e32 v4, v1, v4, vcc_lo
	v_lshlrev_b32_e32 v43, 2, v4
	v_xor_b32_e32 v4, 2, v1
	s_delay_alu instid0(VALU_DEP_1) | instskip(SKIP_1) | instid1(VALU_DEP_1)
	v_cmp_gt_i32_e32 vcc_lo, 32, v4
	v_cndmask_b32_e32 v4, v1, v4, vcc_lo
	v_lshlrev_b32_e32 v44, 2, v4
	v_xor_b32_e32 v4, 1, v1
	s_delay_alu instid0(VALU_DEP_1)
	v_cmp_gt_i32_e32 vcc_lo, 32, v4
	v_dual_cndmask_b32 v1, v1, v4 :: v_dual_lshlrev_b32 v42, 2, v3
	ds_bpermute_b32 v3, v42, v2
	v_lshlrev_b32_e32 v45, 2, v1
	s_waitcnt lgkmcnt(0)
	v_max_f32_e32 v3, v3, v3
	s_delay_alu instid0(VALU_DEP_1) | instskip(SKIP_3) | instid1(VALU_DEP_1)
	v_max_f32_e32 v2, v2, v3
	ds_bpermute_b32 v3, v43, v2
	s_waitcnt lgkmcnt(0)
	v_max_f32_e32 v3, v3, v3
	v_max_f32_e32 v2, v2, v3
	ds_bpermute_b32 v3, v44, v2
	s_waitcnt lgkmcnt(0)
	v_max_f32_e32 v3, v3, v3
	s_delay_alu instid0(VALU_DEP_1) | instskip(SKIP_3) | instid1(VALU_DEP_1)
	v_max_f32_e32 v2, v2, v3
	ds_bpermute_b32 v1, v45, v2
	s_waitcnt lgkmcnt(0)
	v_max_f32_e32 v1, v1, v1
	v_max_f32_e32 v46, v2, v1
	s_cbranch_scc1 .LBB22_30
; %bb.22:
	s_cmpk_gt_u32 s17, 0x400
	s_mov_b32 s24, 0
	s_cselect_b32 s2, -1, 0
	s_and_b32 s3, s17, 31
	s_delay_alu instid0(SALU_CYCLE_1) | instskip(SKIP_1) | instid1(SALU_CYCLE_1)
	s_cmp_lg_u32 s3, 0
	s_cselect_b32 s3, -1, 0
	s_or_b32 s3, s2, s3
	s_mov_b32 s2, -1
	s_and_b32 vcc_lo, exec_lo, s3
	s_mov_b32 s3, 0
	s_cbranch_vccz .LBB22_24
; %bb.23:
	s_add_u32 s8, s0, 0xa0
	s_addc_u32 s9, s1, 0
	s_getpc_b64 s[2:3]
	s_add_u32 s2, s2, .str.2@rel32@lo+4
	s_addc_u32 s3, s3, .str.2@rel32@hi+12
	s_getpc_b64 s[4:5]
	s_add_u32 s4, s4, .str.3@rel32@lo+4
	s_addc_u32 s5, s5, .str.3@rel32@hi+12
	s_getpc_b64 s[6:7]
	s_add_u32 s6, s6, __PRETTY_FUNCTION__._ZL12block_reduceIL19block_reduce_method0ELj0EfET1_S1_PS1_@rel32@lo+4
	s_addc_u32 s7, s7, __PRETTY_FUNCTION__._ZL12block_reduceIL19block_reduce_method0ELj0EfET1_S1_PS1_@rel32@hi+12
	v_dual_mov_b32 v47, v0 :: v_dual_mov_b32 v0, s2
	v_dual_mov_b32 v1, s3 :: v_dual_mov_b32 v2, s4
	;; [unrolled: 1-line block ×4, first 2 shown]
	s_getpc_b64 s[10:11]
	s_add_u32 s10, s10, __assert_fail@rel32@lo+4
	s_addc_u32 s11, s11, __assert_fail@rel32@hi+12
	s_mov_b64 s[20:21], s[0:1]
	s_swappc_b64 s[30:31], s[10:11]
	v_mov_b32_e32 v0, v47
	s_mov_b64 s[0:1], s[20:21]
	s_mov_b32 s2, 0
	s_mov_b32 s3, -1
.LBB22_24:
	s_and_not1_b32 vcc_lo, exec_lo, s2
	s_cbranch_vccnz .LBB22_37
; %bb.25:
	v_and_b32_e32 v1, 31, v0
	s_mov_b32 s2, exec_lo
	s_delay_alu instid0(VALU_DEP_1)
	v_cmpx_eq_u32_e32 0, v1
	s_cbranch_execz .LBB22_27
; %bb.26:
	v_lshrrev_b32_e32 v2, 3, v0
	s_delay_alu instid0(VALU_DEP_1)
	v_add_nc_u32_e32 v2, 0, v2
	ds_store_b32 v2, v46
.LBB22_27:
	s_or_b32 exec_lo, exec_lo, s2
	s_lshr_b32 s2, s17, 5
	v_mov_b32_e32 v2, 0xff800000
	v_cmp_gt_u32_e32 vcc_lo, s2, v1
	s_waitcnt lgkmcnt(0)
	s_waitcnt_vscnt null, 0x0
	s_barrier
	buffer_gl0_inv
	s_and_saveexec_b32 s2, vcc_lo
	s_cbranch_execz .LBB22_29
; %bb.28:
	v_lshl_add_u32 v1, v1, 2, 0
	ds_load_b32 v2, v1
.LBB22_29:
	s_or_b32 exec_lo, exec_lo, s2
	s_waitcnt lgkmcnt(0)
	ds_bpermute_b32 v1, v41, v2
	s_waitcnt lgkmcnt(0)
	v_dual_max_f32 v2, v2, v2 :: v_dual_max_f32 v1, v1, v1
	s_delay_alu instid0(VALU_DEP_1) | instskip(SKIP_3) | instid1(VALU_DEP_1)
	v_max_f32_e32 v1, v2, v1
	ds_bpermute_b32 v2, v42, v1
	s_waitcnt lgkmcnt(0)
	v_max_f32_e32 v2, v2, v2
	v_max_f32_e32 v1, v1, v2
	ds_bpermute_b32 v2, v43, v1
	s_waitcnt lgkmcnt(0)
	v_max_f32_e32 v2, v2, v2
	s_delay_alu instid0(VALU_DEP_1) | instskip(SKIP_3) | instid1(VALU_DEP_1)
	v_max_f32_e32 v1, v1, v2
	ds_bpermute_b32 v2, v44, v1
	s_waitcnt lgkmcnt(0)
	v_max_f32_e32 v2, v2, v2
	v_max_f32_e32 v1, v1, v2
	ds_bpermute_b32 v2, v45, v1
	s_waitcnt lgkmcnt(0)
	v_max_f32_e32 v2, v2, v2
	s_delay_alu instid0(VALU_DEP_1)
	v_max_f32_e32 v46, v1, v2
	s_cbranch_execnz .LBB22_31
	s_branch .LBB22_38
.LBB22_30:
	s_mov_b32 s3, 0
	s_and_b32 vcc_lo, exec_lo, s24
	s_cbranch_vccz .LBB22_38
.LBB22_31:
	s_and_not1_b32 vcc_lo, exec_lo, s29
	s_cbranch_vccnz .LBB22_39
; %bb.32:
	v_lshlrev_b32_e32 v1, 2, v0
	s_mov_b32 s4, 0
	s_lshl_b32 s5, s17, 2
	s_mov_b32 s6, 0
	s_delay_alu instid0(VALU_DEP_1)
	v_add3_u32 v2, v1, 0, 0x80
	v_mov_b32_e32 v1, 0
	s_set_inst_prefetch_distance 0x1
	s_branch .LBB22_34
	.p2align	6
.LBB22_33:                              ;   in Loop: Header=BB22_34 Depth=1
	s_or_b32 exec_lo, exec_lo, s7
	s_add_i32 s6, s6, s17
	v_add_nc_u32_e32 v2, s5, v2
	s_cmp_ge_i32 s6, s26
	s_cselect_b32 s2, -1, 0
	s_xor_b32 s7, vcc_lo, -1
	s_delay_alu instid0(SALU_CYCLE_1) | instskip(NEXT) | instid1(SALU_CYCLE_1)
	s_or_b32 s2, s7, s2
	s_and_b32 s2, exec_lo, s2
	s_delay_alu instid0(SALU_CYCLE_1) | instskip(NEXT) | instid1(SALU_CYCLE_1)
	s_or_b32 s4, s2, s4
	s_and_not1_b32 exec_lo, exec_lo, s4
	s_cbranch_execz .LBB22_36
.LBB22_34:                              ; =>This Inner Loop Header: Depth=1
	v_add_nc_u32_e32 v3, s6, v0
	s_delay_alu instid0(VALU_DEP_1)
	v_cmp_gt_i32_e32 vcc_lo, s26, v3
	s_and_saveexec_b32 s7, vcc_lo
	s_cbranch_execz .LBB22_33
; %bb.35:                               ;   in Loop: Header=BB22_34 Depth=1
	ds_load_b32 v3, v2
	s_waitcnt lgkmcnt(0)
	v_sub_f32_e32 v3, v3, v46
	s_delay_alu instid0(VALU_DEP_1) | instskip(NEXT) | instid1(VALU_DEP_1)
	v_mul_f32_e32 v4, 0x3fb8aa3b, v3
	v_fma_f32 v5, 0x3fb8aa3b, v3, -v4
	v_rndne_f32_e32 v6, v4
	s_delay_alu instid0(VALU_DEP_1) | instskip(NEXT) | instid1(VALU_DEP_1)
	v_dual_fmac_f32 v5, 0x32a5705f, v3 :: v_dual_sub_f32 v4, v4, v6
	v_add_f32_e32 v4, v4, v5
	v_cvt_i32_f32_e32 v5, v6
	v_cmp_ngt_f32_e64 s2, 0xc2ce8ed0, v3
	s_delay_alu instid0(VALU_DEP_3) | instskip(SKIP_2) | instid1(VALU_DEP_1)
	v_exp_f32_e32 v4, v4
	s_waitcnt_depctr 0xfff
	v_ldexp_f32 v4, v4, v5
	v_cndmask_b32_e64 v4, 0, v4, s2
	v_cmp_nlt_f32_e64 s2, 0x42b17218, v3
	s_delay_alu instid0(VALU_DEP_1) | instskip(NEXT) | instid1(VALU_DEP_1)
	v_cndmask_b32_e64 v3, 0x7f800000, v4, s2
	v_add_f32_e32 v1, v1, v3
	ds_store_b32 v2, v3
	s_branch .LBB22_33
.LBB22_36:
	s_set_inst_prefetch_distance 0x2
	s_or_b32 exec_lo, exec_lo, s4
	s_branch .LBB22_40
.LBB22_37:
                                        ; implicit-def: $vgpr46
	s_and_b32 vcc_lo, exec_lo, s24
	s_cbranch_vccnz .LBB22_31
.LBB22_38:
	s_mov_b32 s2, 0
                                        ; implicit-def: $vgpr47
	s_branch .LBB22_44
.LBB22_39:
	v_mov_b32_e32 v1, 0
.LBB22_40:
	ds_bpermute_b32 v2, v41, v1
	s_and_not1_b32 vcc_lo, exec_lo, s23
	s_waitcnt lgkmcnt(0)
	v_add_f32_e32 v1, v1, v2
	ds_bpermute_b32 v2, v42, v1
	s_waitcnt lgkmcnt(0)
	v_add_f32_e32 v1, v1, v2
	ds_bpermute_b32 v2, v43, v1
	;; [unrolled: 3-line block ×4, first 2 shown]
	s_waitcnt lgkmcnt(0)
	v_add_f32_e32 v47, v1, v2
	s_cbranch_vccnz .LBB22_43
; %bb.41:
	s_cmpk_gt_u32 s17, 0x400
	s_mov_b32 s22, 0
	s_cselect_b32 s2, -1, 0
	s_and_b32 s4, s17, 31
	s_delay_alu instid0(SALU_CYCLE_1) | instskip(SKIP_1) | instid1(SALU_CYCLE_1)
	s_cmp_lg_u32 s4, 0
	s_cselect_b32 s4, -1, 0
	s_or_b32 s2, s2, s4
	s_delay_alu instid0(SALU_CYCLE_1)
	s_and_b32 vcc_lo, exec_lo, s2
	s_mov_b32 s2, -1
	s_cbranch_vccz .LBB22_44
; %bb.42:
	s_add_u32 s8, s0, 0xa0
	s_addc_u32 s9, s1, 0
	s_getpc_b64 s[0:1]
	s_add_u32 s0, s0, .str.2@rel32@lo+4
	s_addc_u32 s1, s1, .str.2@rel32@hi+12
	s_getpc_b64 s[2:3]
	s_add_u32 s2, s2, .str.3@rel32@lo+4
	s_addc_u32 s3, s3, .str.3@rel32@hi+12
	s_getpc_b64 s[4:5]
	s_add_u32 s4, s4, __PRETTY_FUNCTION__._ZL12block_reduceIL19block_reduce_method1ELj0EfET1_S1_PS1_@rel32@lo+4
	s_addc_u32 s5, s5, __PRETTY_FUNCTION__._ZL12block_reduceIL19block_reduce_method1ELj0EfET1_S1_PS1_@rel32@hi+12
	v_dual_mov_b32 v53, v0 :: v_dual_mov_b32 v0, s0
	v_dual_mov_b32 v1, s1 :: v_dual_mov_b32 v2, s2
	;; [unrolled: 1-line block ×4, first 2 shown]
	s_getpc_b64 s[6:7]
	s_add_u32 s6, s6, __assert_fail@rel32@lo+4
	s_addc_u32 s7, s7, __assert_fail@rel32@hi+12
	s_delay_alu instid0(SALU_CYCLE_1)
	s_swappc_b64 s[30:31], s[6:7]
	v_mov_b32_e32 v0, v53
	s_mov_b32 s3, -1
	s_mov_b32 s2, 0
	s_branch .LBB22_44
.LBB22_43:
	s_mov_b32 s2, 0
	s_mov_b32 s22, -1
.LBB22_44:
	s_and_b32 vcc_lo, exec_lo, s3
	s_cbranch_vccnz .LBB22_47
; %bb.45:
	s_and_not1_b32 vcc_lo, exec_lo, s2
	s_cbranch_vccz .LBB22_48
.LBB22_46:
	s_and_b32 vcc_lo, exec_lo, s22
	s_cbranch_vccnz .LBB22_53
	s_branch .LBB22_60
.LBB22_47:
	; divergent unreachable
	s_and_not1_b32 vcc_lo, exec_lo, s2
	s_cbranch_vccnz .LBB22_46
.LBB22_48:
	v_and_b32_e32 v1, 31, v0
	s_mov_b32 s0, exec_lo
	s_delay_alu instid0(VALU_DEP_1)
	v_cmpx_eq_u32_e32 0, v1
	s_cbranch_execz .LBB22_50
; %bb.49:
	v_lshrrev_b32_e32 v2, 3, v0
	s_delay_alu instid0(VALU_DEP_1)
	v_add_nc_u32_e32 v2, 0, v2
	ds_store_b32 v2, v47
.LBB22_50:
	s_or_b32 exec_lo, exec_lo, s0
	s_lshr_b32 s0, s17, 5
	v_mov_b32_e32 v2, 0
	v_cmp_gt_u32_e32 vcc_lo, s0, v1
	s_waitcnt lgkmcnt(0)
	s_waitcnt_vscnt null, 0x0
	s_barrier
	buffer_gl0_inv
	s_and_saveexec_b32 s0, vcc_lo
	s_cbranch_execz .LBB22_52
; %bb.51:
	v_lshl_add_u32 v1, v1, 2, 0
	ds_load_b32 v2, v1
.LBB22_52:
	s_or_b32 exec_lo, exec_lo, s0
	s_waitcnt lgkmcnt(0)
	ds_bpermute_b32 v1, v41, v2
	s_waitcnt lgkmcnt(0)
	v_add_f32_e32 v1, v2, v1
	ds_bpermute_b32 v2, v42, v1
	s_waitcnt lgkmcnt(0)
	v_add_f32_e32 v1, v1, v2
	ds_bpermute_b32 v2, v43, v1
	s_waitcnt lgkmcnt(0)
	v_add_f32_e32 v1, v1, v2
	ds_bpermute_b32 v2, v44, v1
	s_waitcnt lgkmcnt(0)
	v_add_f32_e32 v1, v1, v2
	ds_bpermute_b32 v2, v45, v1
	s_waitcnt lgkmcnt(0)
	v_add_f32_e32 v47, v1, v2
	s_cbranch_execz .LBB22_60
.LBB22_53:
	s_and_not1_b32 vcc_lo, exec_lo, s34
	s_cbranch_vccnz .LBB22_55
; %bb.54:
	s_lshl_b64 s[0:1], s[18:19], 2
	v_mov_b32_e32 v1, 0
	s_add_u32 s0, s40, s0
	s_addc_u32 s1, s41, s1
	global_load_b32 v1, v1, s[0:1]
	s_waitcnt vmcnt(0)
	v_sub_f32_e32 v1, v1, v46
	s_delay_alu instid0(VALU_DEP_1) | instskip(NEXT) | instid1(VALU_DEP_1)
	v_mul_f32_e32 v2, 0x3fb8aa3b, v1
	v_fma_f32 v3, 0x3fb8aa3b, v1, -v2
	v_rndne_f32_e32 v4, v2
	s_delay_alu instid0(VALU_DEP_1) | instskip(NEXT) | instid1(VALU_DEP_1)
	v_dual_fmamk_f32 v3, v1, 0x32a5705f, v3 :: v_dual_sub_f32 v2, v2, v4
	v_add_f32_e32 v2, v2, v3
	v_cvt_i32_f32_e32 v3, v4
	v_cmp_ngt_f32_e32 vcc_lo, 0xc2ce8ed0, v1
	s_delay_alu instid0(VALU_DEP_3) | instskip(SKIP_2) | instid1(VALU_DEP_1)
	v_exp_f32_e32 v2, v2
	s_waitcnt_depctr 0xfff
	v_ldexp_f32 v2, v2, v3
	v_cndmask_b32_e32 v2, 0, v2, vcc_lo
	v_cmp_nlt_f32_e32 vcc_lo, 0x42b17218, v1
	s_delay_alu instid0(VALU_DEP_2) | instskip(NEXT) | instid1(VALU_DEP_1)
	v_cndmask_b32_e32 v1, 0x7f800000, v2, vcc_lo
	v_add_f32_e32 v47, v47, v1
.LBB22_55:
	s_and_not1_b32 vcc_lo, exec_lo, s29
	s_cbranch_vccnz .LBB22_60
; %bb.56:
	s_delay_alu instid0(VALU_DEP_1) | instskip(SKIP_2) | instid1(VALU_DEP_2)
	v_div_scale_f32 v1, null, v47, v47, 1.0
	v_div_scale_f32 v4, vcc_lo, 1.0, v47, 1.0
	s_mul_hi_i32 s1, s27, s28
	v_rcp_f32_e32 v2, v1
	s_mul_i32 s0, s27, s28
	s_delay_alu instid0(SALU_CYCLE_1)
	s_lshl_b64 s[2:3], s[0:1], 2
	s_lshl_b32 s0, s17, 2
	s_add_u32 s1, s42, s2
	s_addc_u32 s2, s43, s3
                                        ; implicit-def: $sgpr3
	s_waitcnt_depctr 0xfff
	v_fma_f32 v3, -v1, v2, 1.0
	s_delay_alu instid0(VALU_DEP_1) | instskip(NEXT) | instid1(VALU_DEP_1)
	v_fmac_f32_e32 v2, v3, v2
	v_mul_f32_e32 v3, v4, v2
	s_delay_alu instid0(VALU_DEP_1) | instskip(NEXT) | instid1(VALU_DEP_1)
	v_fma_f32 v5, -v1, v3, v4
	v_fmac_f32_e32 v3, v5, v2
	v_lshlrev_b32_e32 v5, 2, v0
	s_delay_alu instid0(VALU_DEP_2) | instskip(NEXT) | instid1(VALU_DEP_1)
	v_fma_f32 v1, -v1, v3, v4
	v_div_fmas_f32 v1, v1, v2, v3
	s_delay_alu instid0(VALU_DEP_3) | instskip(NEXT) | instid1(VALU_DEP_2)
	v_add3_u32 v3, v5, 0, 0x80
	v_div_fixup_f32 v4, v1, v47, 1.0
	v_add_co_u32 v1, s1, s1, v5
	s_delay_alu instid0(VALU_DEP_1)
	v_add_co_ci_u32_e64 v2, null, s2, 0, s1
	s_mov_b32 s1, 0
	s_mov_b32 s2, 0
	s_set_inst_prefetch_distance 0x1
	s_branch .LBB22_58
	.p2align	6
.LBB22_57:                              ;   in Loop: Header=BB22_58 Depth=1
	s_or_b32 exec_lo, exec_lo, s4
	s_delay_alu instid0(SALU_CYCLE_1) | instskip(NEXT) | instid1(SALU_CYCLE_1)
	s_and_b32 s4, exec_lo, s3
	s_or_b32 s1, s4, s1
	s_delay_alu instid0(SALU_CYCLE_1)
	s_and_not1_b32 exec_lo, exec_lo, s1
	s_cbranch_execz .LBB22_60
.LBB22_58:                              ; =>This Inner Loop Header: Depth=1
	v_add_nc_u32_e32 v5, s2, v0
	s_or_b32 s3, s3, exec_lo
	s_mov_b32 s4, exec_lo
	s_delay_alu instid0(VALU_DEP_1)
	v_cmpx_gt_i32_e64 s26, v5
	s_cbranch_execz .LBB22_57
; %bb.59:                               ;   in Loop: Header=BB22_58 Depth=1
	ds_load_b32 v5, v3
	s_add_i32 s2, s2, s17
	v_add_nc_u32_e32 v3, s0, v3
	s_cmp_ge_i32 s2, s26
	s_cselect_b32 s5, -1, 0
	s_and_not1_b32 s3, s3, exec_lo
	s_and_b32 s5, s5, exec_lo
	s_delay_alu instid0(SALU_CYCLE_1)
	s_or_b32 s3, s3, s5
	s_waitcnt lgkmcnt(0)
	v_mul_f32_e32 v5, v4, v5
	global_store_b32 v[1:2], v5, off
	v_add_co_u32 v1, vcc_lo, v1, s0
	v_add_co_ci_u32_e32 v2, vcc_lo, 0, v2, vcc_lo
	s_branch .LBB22_57
.LBB22_60:
	s_set_inst_prefetch_distance 0x2
	s_endpgm
	.section	.rodata,"a",@progbits
	.p2align	6, 0x0
	.amdhsa_kernel _ZL12soft_max_f32ILb1ELi0ELi0EfEvPKfPKT2_S1_Pf15soft_max_params
		.amdhsa_group_segment_fixed_size 0
		.amdhsa_private_segment_fixed_size 64
		.amdhsa_kernarg_size 416
		.amdhsa_user_sgpr_count 13
		.amdhsa_user_sgpr_dispatch_ptr 0
		.amdhsa_user_sgpr_queue_ptr 0
		.amdhsa_user_sgpr_kernarg_segment_ptr 1
		.amdhsa_user_sgpr_dispatch_id 0
		.amdhsa_user_sgpr_private_segment_size 0
		.amdhsa_wavefront_size32 1
		.amdhsa_uses_dynamic_stack 0
		.amdhsa_enable_private_segment 1
		.amdhsa_system_sgpr_workgroup_id_x 1
		.amdhsa_system_sgpr_workgroup_id_y 1
		.amdhsa_system_sgpr_workgroup_id_z 1
		.amdhsa_system_sgpr_workgroup_info 0
		.amdhsa_system_vgpr_workitem_id 0
		.amdhsa_next_free_vgpr 54
		.amdhsa_next_free_sgpr 44
		.amdhsa_reserve_vcc 1
		.amdhsa_float_round_mode_32 0
		.amdhsa_float_round_mode_16_64 0
		.amdhsa_float_denorm_mode_32 3
		.amdhsa_float_denorm_mode_16_64 3
		.amdhsa_dx10_clamp 1
		.amdhsa_ieee_mode 1
		.amdhsa_fp16_overflow 0
		.amdhsa_workgroup_processor_mode 1
		.amdhsa_memory_ordered 1
		.amdhsa_forward_progress 0
		.amdhsa_shared_vgpr_count 0
		.amdhsa_exception_fp_ieee_invalid_op 0
		.amdhsa_exception_fp_denorm_src 0
		.amdhsa_exception_fp_ieee_div_zero 0
		.amdhsa_exception_fp_ieee_overflow 0
		.amdhsa_exception_fp_ieee_underflow 0
		.amdhsa_exception_fp_ieee_inexact 0
		.amdhsa_exception_int_div_zero 0
	.end_amdhsa_kernel
	.section	.text._ZL12soft_max_f32ILb1ELi0ELi0EfEvPKfPKT2_S1_Pf15soft_max_params,"axG",@progbits,_ZL12soft_max_f32ILb1ELi0ELi0EfEvPKfPKT2_S1_Pf15soft_max_params,comdat
.Lfunc_end22:
	.size	_ZL12soft_max_f32ILb1ELi0ELi0EfEvPKfPKT2_S1_Pf15soft_max_params, .Lfunc_end22-_ZL12soft_max_f32ILb1ELi0ELi0EfEvPKfPKT2_S1_Pf15soft_max_params
                                        ; -- End function
	.section	.AMDGPU.csdata,"",@progbits
; Kernel info:
; codeLenInByte = 5392
; NumSgprs: 46
; NumVgprs: 54
; ScratchSize: 64
; MemoryBound: 0
; FloatMode: 240
; IeeeMode: 1
; LDSByteSize: 0 bytes/workgroup (compile time only)
; SGPRBlocks: 5
; VGPRBlocks: 6
; NumSGPRsForWavesPerEU: 46
; NumVGPRsForWavesPerEU: 54
; Occupancy: 16
; WaveLimiterHint : 1
; COMPUTE_PGM_RSRC2:SCRATCH_EN: 1
; COMPUTE_PGM_RSRC2:USER_SGPR: 13
; COMPUTE_PGM_RSRC2:TRAP_HANDLER: 0
; COMPUTE_PGM_RSRC2:TGID_X_EN: 1
; COMPUTE_PGM_RSRC2:TGID_Y_EN: 1
; COMPUTE_PGM_RSRC2:TGID_Z_EN: 1
; COMPUTE_PGM_RSRC2:TIDIG_COMP_CNT: 0
	.section	.text._ZL12soft_max_f32ILb0ELi0ELi0EfEvPKfPKT2_S1_Pf15soft_max_params,"axG",@progbits,_ZL12soft_max_f32ILb0ELi0ELi0EfEvPKfPKT2_S1_Pf15soft_max_params,comdat
	.globl	_ZL12soft_max_f32ILb0ELi0ELi0EfEvPKfPKT2_S1_Pf15soft_max_params ; -- Begin function _ZL12soft_max_f32ILb0ELi0ELi0EfEvPKfPKT2_S1_Pf15soft_max_params
	.p2align	8
	.type	_ZL12soft_max_f32ILb0ELi0ELi0EfEvPKfPKT2_S1_Pf15soft_max_params,@function
_ZL12soft_max_f32ILb0ELi0ELi0EfEvPKfPKT2_S1_Pf15soft_max_params: ; @_ZL12soft_max_f32ILb0ELi0ELi0EfEvPKfPKT2_S1_Pf15soft_max_params
; %bb.0:
	s_clause 0x1
	s_load_b256 s[20:27], s[0:1], 0x68
	s_load_b64 s[4:5], s[0:1], 0x88
	s_mov_b32 s19, 0
	s_add_u32 s6, s0, 0xa0
	s_mov_b32 s2, s19
	s_addc_u32 s7, s1, 0
	s_mov_b32 s18, s14
	s_mov_b32 s32, 0
	s_waitcnt lgkmcnt(0)
	s_mov_b32 s3, s27
	s_delay_alu instid0(SALU_CYCLE_1)
	s_cmp_lg_u64 s[2:3], 0
	s_cbranch_scc0 .LBB23_10
; %bb.1:
	s_ashr_i32 s2, s27, 31
	s_delay_alu instid0(SALU_CYCLE_1) | instskip(SKIP_2) | instid1(SALU_CYCLE_1)
	s_add_u32 s8, s26, s2
	s_mov_b32 s3, s2
	s_addc_u32 s9, s27, s2
	s_xor_b64 s[2:3], s[8:9], s[2:3]
	s_delay_alu instid0(SALU_CYCLE_1) | instskip(SKIP_3) | instid1(VALU_DEP_1)
	v_cvt_f32_u32_e32 v1, s2
	v_cvt_f32_u32_e32 v2, s3
	s_sub_u32 s10, 0, s2
	s_subb_u32 s11, 0, s3
	v_fmamk_f32 v1, v2, 0x4f800000, v1
	s_delay_alu instid0(VALU_DEP_1) | instskip(SKIP_2) | instid1(VALU_DEP_1)
	v_rcp_f32_e32 v1, v1
	s_waitcnt_depctr 0xfff
	v_mul_f32_e32 v1, 0x5f7ffffc, v1
	v_mul_f32_e32 v2, 0x2f800000, v1
	s_delay_alu instid0(VALU_DEP_1) | instskip(NEXT) | instid1(VALU_DEP_1)
	v_trunc_f32_e32 v2, v2
	v_fmamk_f32 v1, v2, 0xcf800000, v1
	v_cvt_u32_f32_e32 v2, v2
	s_delay_alu instid0(VALU_DEP_2) | instskip(NEXT) | instid1(VALU_DEP_2)
	v_cvt_u32_f32_e32 v1, v1
	v_readfirstlane_b32 s8, v2
	s_delay_alu instid0(VALU_DEP_2) | instskip(NEXT) | instid1(VALU_DEP_2)
	v_readfirstlane_b32 s9, v1
	s_mul_i32 s12, s10, s8
	s_delay_alu instid0(VALU_DEP_1)
	s_mul_hi_u32 s16, s10, s9
	s_mul_i32 s14, s11, s9
	s_add_i32 s12, s16, s12
	s_mul_i32 s17, s10, s9
	s_add_i32 s12, s12, s14
	s_mul_hi_u32 s16, s9, s17
	s_mul_hi_u32 s27, s8, s17
	s_mul_i32 s14, s8, s17
	s_mul_hi_u32 s17, s9, s12
	s_mul_i32 s9, s9, s12
	s_mul_hi_u32 s28, s8, s12
	s_add_u32 s9, s16, s9
	s_addc_u32 s16, 0, s17
	s_add_u32 s9, s9, s14
	s_mul_i32 s12, s8, s12
	s_addc_u32 s9, s16, s27
	s_addc_u32 s14, s28, 0
	s_add_u32 s9, s9, s12
	s_addc_u32 s12, 0, s14
	v_add_co_u32 v1, s9, v1, s9
	s_delay_alu instid0(VALU_DEP_1) | instskip(SKIP_1) | instid1(VALU_DEP_1)
	s_cmp_lg_u32 s9, 0
	s_addc_u32 s8, s8, s12
	v_readfirstlane_b32 s9, v1
	s_mul_i32 s12, s10, s8
	s_delay_alu instid0(VALU_DEP_1)
	s_mul_hi_u32 s14, s10, s9
	s_mul_i32 s11, s11, s9
	s_add_i32 s12, s14, s12
	s_mul_i32 s10, s10, s9
	s_add_i32 s12, s12, s11
	s_mul_hi_u32 s14, s8, s10
	s_mul_i32 s16, s8, s10
	s_mul_hi_u32 s10, s9, s10
	s_mul_hi_u32 s17, s9, s12
	s_mul_i32 s9, s9, s12
	s_mul_hi_u32 s11, s8, s12
	s_add_u32 s9, s10, s9
	s_addc_u32 s10, 0, s17
	s_add_u32 s9, s9, s16
	s_mul_i32 s12, s8, s12
	s_addc_u32 s9, s10, s14
	s_addc_u32 s10, s11, 0
	s_add_u32 s9, s9, s12
	s_addc_u32 s10, 0, s10
	v_add_co_u32 v1, s9, v1, s9
	s_delay_alu instid0(VALU_DEP_1) | instskip(SKIP_1) | instid1(VALU_DEP_1)
	s_cmp_lg_u32 s9, 0
	s_addc_u32 s8, s8, s10
	v_readfirstlane_b32 s9, v1
	s_mul_i32 s10, s18, s8
	s_mul_hi_u32 s8, s18, s8
	s_delay_alu instid0(VALU_DEP_1) | instskip(NEXT) | instid1(SALU_CYCLE_1)
	s_mul_hi_u32 s9, s18, s9
	s_add_u32 s9, s9, s10
	s_addc_u32 s8, 0, s8
	s_add_u32 s9, s9, 0
	s_addc_u32 s8, s8, 0
	s_addc_u32 s9, 0, 0
	s_add_u32 s8, s8, 0
	s_addc_u32 s9, 0, s9
	s_mul_hi_u32 s10, s2, s8
	s_mul_i32 s9, s2, s9
	s_mul_i32 s11, s3, s8
	;; [unrolled: 1-line block ×3, first 2 shown]
	s_add_i32 s9, s10, s9
	v_sub_co_u32 v1, s8, s18, s8
	s_add_i32 s9, s9, s11
	s_delay_alu instid0(SALU_CYCLE_1) | instskip(SKIP_1) | instid1(VALU_DEP_1)
	s_sub_i32 s10, 0, s9
	s_cmp_lg_u32 s8, 0
	v_sub_co_u32 v2, s11, v1, s2
	s_subb_u32 s10, s10, s3
	s_cmp_lg_u32 s11, 0
	s_subb_u32 s12, s10, 0
	s_delay_alu instid0(VALU_DEP_1)
	v_cmp_le_u32_e32 vcc_lo, s2, v2
	s_cmp_ge_u32 s12, s3
	s_cselect_b32 s14, -1, 0
	s_cmp_eq_u32 s12, s3
	v_cndmask_b32_e64 v3, 0, -1, vcc_lo
	s_cselect_b32 vcc_lo, -1, 0
	s_cmp_lg_u32 s11, 0
	v_sub_co_u32 v4, s11, v2, s2
	s_subb_u32 s10, s10, s3
	s_cmp_lg_u32 s11, 0
	v_cndmask_b32_e32 v3, s14, v3, vcc_lo
	s_subb_u32 s10, s10, 0
	s_cmp_lg_u32 s8, 0
	v_cmp_le_u32_e32 vcc_lo, s2, v1
	s_subb_u32 s8, 0, s9
	s_delay_alu instid0(SALU_CYCLE_1)
	s_cmp_ge_u32 s8, s3
	v_cndmask_b32_e64 v5, 0, -1, vcc_lo
	s_cselect_b32 s9, -1, 0
	s_cmp_eq_u32 s8, s3
	v_cmp_ne_u32_e32 vcc_lo, 0, v3
	v_mov_b32_e32 v3, s10
	s_cselect_b32 s2, -1, 0
	s_delay_alu instid0(SALU_CYCLE_1) | instskip(SKIP_1) | instid1(VALU_DEP_3)
	v_cndmask_b32_e64 v5, s9, v5, s2
	v_cndmask_b32_e32 v2, v2, v4, vcc_lo
	v_cndmask_b32_e32 v3, s12, v3, vcc_lo
	s_mov_b32 s2, s19
	s_delay_alu instid0(VALU_DEP_3) | instskip(NEXT) | instid1(VALU_DEP_3)
	v_cmp_ne_u32_e32 vcc_lo, 0, v5
	v_cndmask_b32_e32 v1, v1, v2, vcc_lo
	s_delay_alu instid0(VALU_DEP_3) | instskip(NEXT) | instid1(VALU_DEP_2)
	v_cndmask_b32_e32 v3, s8, v3, vcc_lo
	v_sub_co_u32 v1, vcc_lo, v1, 0
	s_delay_alu instid0(VALU_DEP_2)
	v_subrev_co_ci_u32_e32 v2, vcc_lo, 0, v3, vcc_lo
	s_and_not1_b32 vcc_lo, exec_lo, s2
	s_cbranch_vccnz .LBB23_3
.LBB23_2:
	v_cvt_f32_u32_e32 v1, s26
	s_sub_i32 s3, 0, s26
	s_delay_alu instid0(VALU_DEP_1) | instskip(SKIP_2) | instid1(VALU_DEP_1)
	v_rcp_iflag_f32_e32 v1, v1
	s_waitcnt_depctr 0xfff
	v_mul_f32_e32 v1, 0x4f7ffffe, v1
	v_cvt_u32_f32_e32 v1, v1
	s_delay_alu instid0(VALU_DEP_1) | instskip(NEXT) | instid1(VALU_DEP_1)
	v_readfirstlane_b32 s2, v1
	s_mul_i32 s3, s3, s2
	s_delay_alu instid0(SALU_CYCLE_1) | instskip(NEXT) | instid1(SALU_CYCLE_1)
	s_mul_hi_u32 s3, s2, s3
	s_add_i32 s2, s2, s3
	s_delay_alu instid0(SALU_CYCLE_1) | instskip(NEXT) | instid1(SALU_CYCLE_1)
	s_mul_hi_u32 s2, s18, s2
	s_mul_i32 s2, s2, s26
	s_delay_alu instid0(SALU_CYCLE_1) | instskip(NEXT) | instid1(SALU_CYCLE_1)
	s_sub_i32 s2, s18, s2
	s_sub_i32 s3, s2, s26
	s_cmp_ge_u32 s2, s26
	s_cselect_b32 s2, s3, s2
	s_mov_b32 s3, 0
	s_sub_i32 s8, s2, s26
	s_cmp_ge_u32 s2, s26
	s_cselect_b32 s2, s8, s2
	s_delay_alu instid0(SALU_CYCLE_1)
	v_dual_mov_b32 v1, s2 :: v_dual_mov_b32 v2, s3
.LBB23_3:
	s_load_b64 s[8:9], s[0:1], 0x90
	s_mov_b32 s10, 0
	s_mov_b32 s11, s5
	s_delay_alu instid0(SALU_CYCLE_1)
	s_cmp_lg_u64 s[10:11], 0
	s_cbranch_scc0 .LBB23_11
; %bb.4:
	s_ashr_i32 s2, s5, 31
	s_delay_alu instid0(SALU_CYCLE_1) | instskip(SKIP_2) | instid1(SALU_CYCLE_1)
	s_add_u32 s16, s4, s2
	s_mov_b32 s3, s2
	s_addc_u32 s17, s5, s2
	s_xor_b64 s[2:3], s[16:17], s[2:3]
	s_delay_alu instid0(SALU_CYCLE_1) | instskip(SKIP_3) | instid1(VALU_DEP_1)
	v_cvt_f32_u32_e32 v3, s2
	v_cvt_f32_u32_e32 v4, s3
	s_sub_u32 s12, 0, s2
	s_subb_u32 s14, 0, s3
	v_fmamk_f32 v3, v4, 0x4f800000, v3
	s_delay_alu instid0(VALU_DEP_1) | instskip(SKIP_2) | instid1(VALU_DEP_1)
	v_rcp_f32_e32 v3, v3
	s_waitcnt_depctr 0xfff
	v_mul_f32_e32 v3, 0x5f7ffffc, v3
	v_mul_f32_e32 v4, 0x2f800000, v3
	s_delay_alu instid0(VALU_DEP_1) | instskip(NEXT) | instid1(VALU_DEP_1)
	v_trunc_f32_e32 v4, v4
	v_fmamk_f32 v3, v4, 0xcf800000, v3
	v_cvt_u32_f32_e32 v4, v4
	s_delay_alu instid0(VALU_DEP_2) | instskip(NEXT) | instid1(VALU_DEP_2)
	v_cvt_u32_f32_e32 v3, v3
	v_readfirstlane_b32 s5, v4
	s_delay_alu instid0(VALU_DEP_2) | instskip(NEXT) | instid1(VALU_DEP_2)
	v_readfirstlane_b32 s11, v3
	s_mul_i32 s16, s12, s5
	s_delay_alu instid0(VALU_DEP_1)
	s_mul_hi_u32 s26, s12, s11
	s_mul_i32 s17, s14, s11
	s_add_i32 s16, s26, s16
	s_mul_i32 s27, s12, s11
	s_add_i32 s16, s16, s17
	s_mul_hi_u32 s26, s11, s27
	s_mul_hi_u32 s28, s5, s27
	s_mul_i32 s17, s5, s27
	s_mul_hi_u32 s27, s11, s16
	s_mul_i32 s11, s11, s16
	s_mul_hi_u32 s29, s5, s16
	s_add_u32 s11, s26, s11
	s_addc_u32 s26, 0, s27
	s_add_u32 s11, s11, s17
	s_mul_i32 s16, s5, s16
	s_addc_u32 s11, s26, s28
	s_addc_u32 s17, s29, 0
	s_add_u32 s11, s11, s16
	s_addc_u32 s16, 0, s17
	v_add_co_u32 v3, s11, v3, s11
	s_delay_alu instid0(VALU_DEP_1) | instskip(SKIP_1) | instid1(VALU_DEP_1)
	s_cmp_lg_u32 s11, 0
	s_addc_u32 s5, s5, s16
	v_readfirstlane_b32 s11, v3
	s_mul_i32 s16, s12, s5
	s_delay_alu instid0(VALU_DEP_1)
	s_mul_hi_u32 s17, s12, s11
	s_mul_i32 s14, s14, s11
	s_add_i32 s16, s17, s16
	s_mul_i32 s12, s12, s11
	s_add_i32 s16, s16, s14
	s_mul_hi_u32 s17, s5, s12
	s_mul_i32 s26, s5, s12
	s_mul_hi_u32 s12, s11, s12
	s_mul_hi_u32 s27, s11, s16
	s_mul_i32 s11, s11, s16
	s_mul_hi_u32 s14, s5, s16
	s_add_u32 s11, s12, s11
	s_addc_u32 s12, 0, s27
	s_add_u32 s11, s11, s26
	s_mul_i32 s16, s5, s16
	s_addc_u32 s11, s12, s17
	s_addc_u32 s12, s14, 0
	s_add_u32 s11, s11, s16
	s_addc_u32 s12, 0, s12
	v_add_co_u32 v3, s11, v3, s11
	s_delay_alu instid0(VALU_DEP_1) | instskip(SKIP_1) | instid1(VALU_DEP_1)
	s_cmp_lg_u32 s11, 0
	s_addc_u32 s5, s5, s12
	v_readfirstlane_b32 s11, v3
	s_mul_i32 s12, s15, s5
	s_mul_hi_u32 s5, s15, s5
	s_delay_alu instid0(VALU_DEP_1) | instskip(NEXT) | instid1(SALU_CYCLE_1)
	s_mul_hi_u32 s11, s15, s11
	s_add_u32 s11, s11, s12
	s_addc_u32 s5, 0, s5
	s_add_u32 s11, s11, 0
	s_addc_u32 s5, s5, 0
	s_addc_u32 s11, 0, 0
	s_add_u32 s5, s5, 0
	s_addc_u32 s11, 0, s11
	s_mul_hi_u32 s12, s2, s5
	s_mul_i32 s11, s2, s11
	s_mul_i32 s14, s3, s5
	;; [unrolled: 1-line block ×3, first 2 shown]
	s_add_i32 s11, s12, s11
	v_sub_co_u32 v3, s5, s15, s5
	s_add_i32 s11, s11, s14
	s_delay_alu instid0(SALU_CYCLE_1) | instskip(SKIP_1) | instid1(VALU_DEP_1)
	s_sub_i32 s12, 0, s11
	s_cmp_lg_u32 s5, 0
	v_sub_co_u32 v4, s14, v3, s2
	s_subb_u32 s12, s12, s3
	s_cmp_lg_u32 s14, 0
	s_subb_u32 s16, s12, 0
	s_delay_alu instid0(VALU_DEP_1)
	v_cmp_le_u32_e32 vcc_lo, s2, v4
	s_cmp_ge_u32 s16, s3
	s_cselect_b32 s17, -1, 0
	s_cmp_eq_u32 s16, s3
	v_cndmask_b32_e64 v5, 0, -1, vcc_lo
	s_cselect_b32 vcc_lo, -1, 0
	s_cmp_lg_u32 s14, 0
	v_sub_co_u32 v6, s14, v4, s2
	s_subb_u32 s12, s12, s3
	s_cmp_lg_u32 s14, 0
	v_cndmask_b32_e32 v5, s17, v5, vcc_lo
	s_subb_u32 s12, s12, 0
	s_cmp_lg_u32 s5, 0
	v_cmp_le_u32_e32 vcc_lo, s2, v3
	s_subb_u32 s5, 0, s11
	s_delay_alu instid0(SALU_CYCLE_1)
	s_cmp_ge_u32 s5, s3
	v_cndmask_b32_e64 v7, 0, -1, vcc_lo
	s_cselect_b32 s11, -1, 0
	s_cmp_eq_u32 s5, s3
	v_cmp_ne_u32_e32 vcc_lo, 0, v5
	v_mov_b32_e32 v5, s12
	s_cselect_b32 s2, -1, 0
	s_delay_alu instid0(SALU_CYCLE_1) | instskip(SKIP_1) | instid1(VALU_DEP_3)
	v_cndmask_b32_e64 v7, s11, v7, s2
	v_cndmask_b32_e32 v4, v4, v6, vcc_lo
	v_cndmask_b32_e32 v5, s16, v5, vcc_lo
	s_delay_alu instid0(VALU_DEP_3) | instskip(NEXT) | instid1(VALU_DEP_3)
	v_cmp_ne_u32_e32 vcc_lo, 0, v7
	v_cndmask_b32_e32 v3, v3, v4, vcc_lo
	s_delay_alu instid0(VALU_DEP_3) | instskip(NEXT) | instid1(VALU_DEP_2)
	v_cndmask_b32_e32 v5, s5, v5, vcc_lo
	v_sub_co_u32 v3, vcc_lo, v3, 0
	s_delay_alu instid0(VALU_DEP_2)
	v_subrev_co_ci_u32_e32 v4, vcc_lo, 0, v5, vcc_lo
	s_and_not1_b32 vcc_lo, exec_lo, s10
	s_cbranch_vccnz .LBB23_6
.LBB23_5:
	v_cvt_f32_u32_e32 v3, s4
	s_sub_i32 s3, 0, s4
	s_delay_alu instid0(VALU_DEP_1) | instskip(SKIP_2) | instid1(VALU_DEP_1)
	v_rcp_iflag_f32_e32 v3, v3
	s_waitcnt_depctr 0xfff
	v_mul_f32_e32 v3, 0x4f7ffffe, v3
	v_cvt_u32_f32_e32 v3, v3
	s_delay_alu instid0(VALU_DEP_1) | instskip(NEXT) | instid1(VALU_DEP_1)
	v_readfirstlane_b32 s2, v3
	s_mul_i32 s3, s3, s2
	s_delay_alu instid0(SALU_CYCLE_1) | instskip(NEXT) | instid1(SALU_CYCLE_1)
	s_mul_hi_u32 s3, s2, s3
	s_add_i32 s2, s2, s3
	s_delay_alu instid0(SALU_CYCLE_1) | instskip(NEXT) | instid1(SALU_CYCLE_1)
	s_mul_hi_u32 s2, s15, s2
	s_mul_i32 s2, s2, s4
	s_delay_alu instid0(SALU_CYCLE_1) | instskip(NEXT) | instid1(SALU_CYCLE_1)
	s_sub_i32 s2, s15, s2
	s_sub_i32 s3, s2, s4
	s_cmp_ge_u32 s2, s4
	s_cselect_b32 s2, s3, s2
	s_mov_b32 s3, 0
	s_sub_i32 s5, s2, s4
	s_cmp_ge_u32 s2, s4
	s_cselect_b32 s2, s5, s2
	s_delay_alu instid0(SALU_CYCLE_1)
	v_dual_mov_b32 v4, s3 :: v_dual_mov_b32 v3, s2
.LBB23_6:
	s_clause 0x1
	s_load_b64 s[26:27], s[0:1], 0x30
	s_load_b64 s[10:11], s[0:1], 0xa0
	s_waitcnt lgkmcnt(0)
	v_cmp_le_f32_e64 s2, s9, 0
	v_mov_b32_e32 v5, 1.0
	s_delay_alu instid0(VALU_DEP_2)
	s_and_b32 vcc_lo, exec_lo, s2
	s_cbranch_vccnz .LBB23_8
; %bb.7:
	s_clause 0x1
	s_load_b32 s4, s[0:1], 0x28
	s_load_b64 s[2:3], s[0:1], 0x98
	s_add_i32 s9, s18, 1
	s_waitcnt lgkmcnt(0)
	s_sub_i32 s5, s18, s4
	v_mov_b32_e32 v5, s2
	s_lshl_b32 s5, s5, 1
	s_delay_alu instid0(SALU_CYCLE_1)
	s_or_b32 s2, s5, 1
	s_cmp_lt_u32 s18, s4
	s_cselect_b32 vcc_lo, -1, 0
	v_cndmask_b32_e32 v7, s3, v5, vcc_lo
	s_and_b32 s3, vcc_lo, exec_lo
	s_cselect_b32 s2, s9, s2
	s_mov_b32 s3, 0x3e76c4e1
	v_cvt_f32_i32_e32 v5, s2
	v_cmp_neq_f32_e32 vcc_lo, 1.0, v7
	s_delay_alu instid0(VALU_DEP_2) | instskip(NEXT) | instid1(VALU_DEP_1)
	v_cndmask_b32_e32 v8, 1.0, v5, vcc_lo
	v_cmp_eq_f32_e32 vcc_lo, 0, v8
	v_cndmask_b32_e64 v9, |v7|, 1.0, vcc_lo
	s_delay_alu instid0(VALU_DEP_1) | instskip(NEXT) | instid1(VALU_DEP_1)
	v_frexp_mant_f32_e32 v5, v9
	v_cmp_gt_f32_e64 s2, 0x3f2aaaab, v5
	s_delay_alu instid0(VALU_DEP_1) | instskip(NEXT) | instid1(VALU_DEP_1)
	v_cndmask_b32_e64 v6, 1.0, 2.0, s2
	v_mul_f32_e32 v5, v5, v6
	s_delay_alu instid0(VALU_DEP_1) | instskip(SKIP_1) | instid1(VALU_DEP_2)
	v_add_f32_e32 v6, 1.0, v5
	v_add_f32_e32 v11, -1.0, v5
	v_rcp_f32_e32 v10, v6
	s_waitcnt_depctr 0xfff
	v_mul_f32_e32 v12, v11, v10
	s_delay_alu instid0(VALU_DEP_1) | instskip(NEXT) | instid1(VALU_DEP_1)
	v_dual_add_f32 v13, -1.0, v6 :: v_dual_mul_f32 v14, v6, v12
	v_sub_f32_e32 v5, v5, v13
	v_cndmask_b32_e64 v7, v7, 1.0, vcc_lo
	s_delay_alu instid0(VALU_DEP_3) | instskip(NEXT) | instid1(VALU_DEP_2)
	v_fma_f32 v6, v12, v6, -v14
	v_cmp_eq_f32_e64 s4, 0, v7
	s_delay_alu instid0(VALU_DEP_2) | instskip(NEXT) | instid1(VALU_DEP_1)
	v_fmac_f32_e32 v6, v12, v5
	v_add_f32_e32 v5, v14, v6
	s_delay_alu instid0(VALU_DEP_1) | instskip(NEXT) | instid1(VALU_DEP_1)
	v_dual_sub_f32 v14, v5, v14 :: v_dual_sub_f32 v13, v11, v5
	v_dual_sub_f32 v6, v14, v6 :: v_dual_sub_f32 v11, v11, v13
	s_delay_alu instid0(VALU_DEP_1) | instskip(NEXT) | instid1(VALU_DEP_1)
	v_sub_f32_e32 v5, v11, v5
	v_add_f32_e32 v5, v6, v5
	s_delay_alu instid0(VALU_DEP_1) | instskip(NEXT) | instid1(VALU_DEP_1)
	v_add_f32_e32 v5, v13, v5
	v_mul_f32_e32 v5, v10, v5
	s_delay_alu instid0(VALU_DEP_1) | instskip(NEXT) | instid1(VALU_DEP_1)
	v_add_f32_e32 v10, v12, v5
	v_sub_f32_e32 v6, v10, v12
	v_mul_f32_e32 v11, v10, v10
	s_delay_alu instid0(VALU_DEP_2) | instskip(NEXT) | instid1(VALU_DEP_2)
	v_sub_f32_e32 v12, v5, v6
	v_fma_f32 v13, v10, v10, -v11
	s_delay_alu instid0(VALU_DEP_2) | instskip(NEXT) | instid1(VALU_DEP_1)
	v_add_f32_e32 v5, v12, v12
	v_fmac_f32_e32 v13, v10, v5
	v_cvt_f64_f32_e32 v[5:6], v9
	s_delay_alu instid0(VALU_DEP_2) | instskip(NEXT) | instid1(VALU_DEP_1)
	v_add_f32_e32 v14, v11, v13
	v_fmaak_f32 v15, s3, v14, 0x3e91f4c4
	v_sub_f32_e32 v11, v14, v11
	v_mul_f32_e32 v18, v10, v14
	s_delay_alu instid0(VALU_DEP_3) | instskip(NEXT) | instid1(VALU_DEP_3)
	v_fmaak_f32 v15, v14, v15, 0x3ecccdef
	v_sub_f32_e32 v11, v13, v11
	s_delay_alu instid0(VALU_DEP_2) | instskip(NEXT) | instid1(VALU_DEP_1)
	v_mul_f32_e32 v16, v14, v15
	v_fma_f32 v13, v14, v15, -v16
	s_delay_alu instid0(VALU_DEP_1) | instskip(NEXT) | instid1(VALU_DEP_1)
	v_fmac_f32_e32 v13, v11, v15
	v_add_f32_e32 v15, v16, v13
	v_frexp_exp_i32_f64_e32 v5, v[5:6]
	s_delay_alu instid0(VALU_DEP_2) | instskip(NEXT) | instid1(VALU_DEP_1)
	v_sub_f32_e32 v16, v15, v16
	v_sub_f32_e32 v6, v13, v16
	v_fma_f32 v16, v14, v10, -v18
	s_delay_alu instid0(VALU_DEP_2) | instskip(NEXT) | instid1(VALU_DEP_2)
	v_add_f32_e32 v6, 0x31739010, v6
	v_dual_add_f32 v17, 0x3f2aaaaa, v15 :: v_dual_fmac_f32 v16, v14, v12
	v_ldexp_f32 v12, v12, 1
	s_delay_alu instid0(VALU_DEP_2) | instskip(NEXT) | instid1(VALU_DEP_1)
	v_dual_add_f32 v13, 0xbf2aaaaa, v17 :: v_dual_fmac_f32 v16, v11, v10
	v_sub_f32_e32 v13, v15, v13
	s_delay_alu instid0(VALU_DEP_1) | instskip(NEXT) | instid1(VALU_DEP_3)
	v_add_f32_e32 v6, v6, v13
	v_add_f32_e32 v13, v18, v16
	s_delay_alu instid0(VALU_DEP_2) | instskip(NEXT) | instid1(VALU_DEP_1)
	v_add_f32_e32 v11, v17, v6
	v_sub_f32_e32 v14, v17, v11
	s_delay_alu instid0(VALU_DEP_3) | instskip(SKIP_2) | instid1(VALU_DEP_4)
	v_mul_f32_e32 v15, v13, v11
	v_sub_f32_e32 v17, v13, v18
	v_subrev_co_ci_u32_e64 v5, s2, 0, v5, s2
	v_add_f32_e32 v6, v6, v14
	s_delay_alu instid0(VALU_DEP_4) | instskip(NEXT) | instid1(VALU_DEP_4)
	v_fma_f32 v14, v13, v11, -v15
	v_sub_f32_e32 v16, v16, v17
	s_delay_alu instid0(VALU_DEP_4) | instskip(NEXT) | instid1(VALU_DEP_3)
	v_cvt_f32_i32_e32 v5, v5
	v_fmac_f32_e32 v14, v13, v6
	v_ldexp_f32 v6, v10, 1
	s_delay_alu instid0(VALU_DEP_2) | instskip(NEXT) | instid1(VALU_DEP_1)
	v_fmac_f32_e32 v14, v16, v11
	v_add_f32_e32 v10, v15, v14
	s_delay_alu instid0(VALU_DEP_1) | instskip(NEXT) | instid1(VALU_DEP_1)
	v_add_f32_e32 v11, v6, v10
	v_dual_sub_f32 v6, v11, v6 :: v_dual_sub_f32 v13, v10, v15
	s_delay_alu instid0(VALU_DEP_1) | instskip(NEXT) | instid1(VALU_DEP_2)
	v_sub_f32_e32 v6, v10, v6
	v_sub_f32_e32 v13, v14, v13
	s_delay_alu instid0(VALU_DEP_1) | instskip(NEXT) | instid1(VALU_DEP_1)
	v_add_f32_e32 v10, v12, v13
	v_dual_mul_f32 v15, 0x3f317218, v5 :: v_dual_add_f32 v6, v10, v6
	s_delay_alu instid0(VALU_DEP_1) | instskip(NEXT) | instid1(VALU_DEP_2)
	v_fma_f32 v14, 0x3f317218, v5, -v15
	v_add_f32_e32 v12, v11, v6
	s_delay_alu instid0(VALU_DEP_1) | instskip(NEXT) | instid1(VALU_DEP_1)
	v_sub_f32_e32 v11, v12, v11
	v_dual_fmamk_f32 v5, v5, 0xb102e308, v14 :: v_dual_sub_f32 v6, v6, v11
	s_delay_alu instid0(VALU_DEP_1) | instskip(NEXT) | instid1(VALU_DEP_1)
	v_add_f32_e32 v10, v15, v5
	v_add_f32_e32 v13, v10, v12
	s_delay_alu instid0(VALU_DEP_1) | instskip(NEXT) | instid1(VALU_DEP_1)
	v_dual_sub_f32 v15, v10, v15 :: v_dual_sub_f32 v14, v13, v10
	v_sub_f32_e32 v16, v13, v14
	s_delay_alu instid0(VALU_DEP_2) | instskip(NEXT) | instid1(VALU_DEP_2)
	v_sub_f32_e32 v5, v5, v15
	v_dual_sub_f32 v11, v12, v14 :: v_dual_sub_f32 v10, v10, v16
	s_delay_alu instid0(VALU_DEP_2) | instskip(NEXT) | instid1(VALU_DEP_2)
	v_add_f32_e32 v12, v5, v6
	v_add_f32_e32 v10, v11, v10
	s_delay_alu instid0(VALU_DEP_1) | instskip(NEXT) | instid1(VALU_DEP_1)
	v_add_f32_e32 v10, v12, v10
	v_dual_sub_f32 v11, v12, v5 :: v_dual_add_f32 v14, v13, v10
	s_delay_alu instid0(VALU_DEP_1) | instskip(SKIP_1) | instid1(VALU_DEP_3)
	v_sub_f32_e32 v12, v12, v11
	v_sub_f32_e32 v6, v6, v11
	;; [unrolled: 1-line block ×3, first 2 shown]
	s_delay_alu instid0(VALU_DEP_3) | instskip(NEXT) | instid1(VALU_DEP_1)
	v_sub_f32_e32 v5, v5, v12
	v_add_f32_e32 v5, v6, v5
	s_delay_alu instid0(VALU_DEP_3) | instskip(NEXT) | instid1(VALU_DEP_1)
	v_sub_f32_e32 v6, v10, v11
	v_add_f32_e32 v5, v5, v6
	s_delay_alu instid0(VALU_DEP_1) | instskip(NEXT) | instid1(VALU_DEP_1)
	v_add_f32_e32 v6, v14, v5
	v_mul_f32_e32 v11, v8, v6
	v_sub_f32_e32 v10, v6, v14
	s_delay_alu instid0(VALU_DEP_2) | instskip(NEXT) | instid1(VALU_DEP_2)
	v_fma_f32 v6, v8, v6, -v11
	v_sub_f32_e32 v5, v5, v10
	v_cmp_class_f32_e64 s2, v11, 0x204
	s_delay_alu instid0(VALU_DEP_2) | instskip(NEXT) | instid1(VALU_DEP_1)
	v_fmac_f32_e32 v6, v8, v5
	v_add_f32_e32 v5, v11, v6
	s_delay_alu instid0(VALU_DEP_1) | instskip(NEXT) | instid1(VALU_DEP_1)
	v_cndmask_b32_e64 v10, v5, v11, s2
	v_cmp_eq_f32_e64 s2, 0x42b17218, v10
	s_delay_alu instid0(VALU_DEP_1) | instskip(SKIP_1) | instid1(VALU_DEP_2)
	v_cndmask_b32_e64 v12, 0, 0x37000000, s2
	v_cmp_neq_f32_e64 s2, 0x7f800000, |v10|
	v_sub_f32_e32 v13, v10, v12
	v_trunc_f32_e32 v10, v8
	s_delay_alu instid0(VALU_DEP_2) | instskip(NEXT) | instid1(VALU_DEP_1)
	v_mul_f32_e32 v14, 0x3fb8aa3b, v13
	v_fma_f32 v15, 0x3fb8aa3b, v13, -v14
	v_rndne_f32_e32 v16, v14
	s_delay_alu instid0(VALU_DEP_1) | instskip(NEXT) | instid1(VALU_DEP_1)
	v_dual_fmamk_f32 v15, v13, 0x32a5705f, v15 :: v_dual_sub_f32 v14, v14, v16
	v_add_f32_e32 v14, v14, v15
	v_sub_f32_e32 v5, v5, v11
	v_cvt_i32_f32_e32 v11, v16
	s_delay_alu instid0(VALU_DEP_3) | instskip(NEXT) | instid1(VALU_DEP_2)
	v_exp_f32_e32 v14, v14
	v_sub_f32_e32 v5, v6, v5
	s_delay_alu instid0(VALU_DEP_1)
	v_cndmask_b32_e64 v5, 0, v5, s2
	v_cmp_ngt_f32_e64 s2, 0xc2ce8ed0, v13
	s_waitcnt_depctr 0xfff
	v_ldexp_f32 v6, v14, v11
	v_mul_f32_e32 v11, 0.5, v8
	v_add_f32_e32 v5, v12, v5
	s_delay_alu instid0(VALU_DEP_3) | instskip(NEXT) | instid1(VALU_DEP_3)
	v_cndmask_b32_e64 v6, 0, v6, s2
	v_trunc_f32_e32 v14, v11
	v_cmp_nlt_f32_e64 s2, 0x42b17218, v13
	s_delay_alu instid0(VALU_DEP_2) | instskip(NEXT) | instid1(VALU_DEP_2)
	v_cmp_neq_f32_e64 s3, v14, v11
	v_cndmask_b32_e64 v6, 0x7f800000, v6, s2
	v_cmp_eq_f32_e64 s2, v10, v8
	s_delay_alu instid0(VALU_DEP_2) | instskip(NEXT) | instid1(VALU_DEP_2)
	v_fma_f32 v5, v6, v5, v6
	s_and_b32 vcc_lo, s2, s3
	v_cmp_class_f32_e64 s3, v6, 0x204
	v_cndmask_b32_e32 v10, 1.0, v7, vcc_lo
	s_delay_alu instid0(VALU_DEP_2) | instskip(SKIP_1) | instid1(VALU_DEP_2)
	v_cndmask_b32_e64 v5, v5, v6, s3
	v_cmp_gt_f32_e64 s3, 0, v8
	v_bfi_b32 v5, 0x7fffffff, v5, v10
	v_cndmask_b32_e32 v10, 0, v7, vcc_lo
	s_delay_alu instid0(VALU_DEP_3)
	s_xor_b32 s3, s3, s4
	v_cmp_eq_f32_e32 vcc_lo, 0x7f800000, v9
	v_cndmask_b32_e64 v6, 0x7f800000, 0, s3
	v_cndmask_b32_e64 v8, 0x7fc00000, v5, s2
	v_cmp_gt_f32_e64 s2, 0, v7
	s_or_b32 vcc_lo, vcc_lo, s4
	s_delay_alu instid0(VALU_DEP_3) | instskip(NEXT) | instid1(VALU_DEP_2)
	v_bfi_b32 v6, 0x7fffffff, v6, v10
	v_cndmask_b32_e64 v5, v5, v8, s2
	s_delay_alu instid0(VALU_DEP_1) | instskip(SKIP_1) | instid1(VALU_DEP_2)
	v_cndmask_b32_e32 v5, v5, v6, vcc_lo
	v_cmp_o_f32_e32 vcc_lo, v7, v7
	v_cndmask_b32_e32 v5, 0x7fc00000, v5, vcc_lo
.LBB23_8:
	s_load_b256 s[36:43], s[0:1], 0x0
	s_load_b32 s2, s[6:7], 0xc
	s_waitcnt lgkmcnt(0)
	s_cmp_lg_u64 s[40:41], 0
	s_cselect_b32 s34, -1, 0
	s_cmp_eq_u64 s[40:41], 0
	s_cbranch_scc1 .LBB23_12
; %bb.9:
	s_lshl_b64 s[4:5], s[18:19], 2
	s_delay_alu instid0(SALU_CYCLE_1)
	s_add_u32 s4, s40, s4
	s_addc_u32 s5, s41, s5
	s_load_b32 s3, s[4:5], 0x0
	s_branch .LBB23_13
.LBB23_10:
                                        ; implicit-def: $vgpr1_vgpr2
	s_branch .LBB23_2
.LBB23_11:
                                        ; implicit-def: $vgpr3_vgpr4
	s_branch .LBB23_5
.LBB23_12:
	s_mov_b32 s3, 0xff800000
.LBB23_13:
	s_mul_i32 s4, s11, s15
	s_bfe_i64 s[28:29], s[26:27], 0x200000
	s_add_i32 s4, s4, s18
	s_and_b32 s17, 0xffff, s2
	s_mul_i32 s27, s4, s10
	s_waitcnt lgkmcnt(0)
	v_mov_b32_e32 v6, s3
	s_add_i32 s27, s27, s13
	s_cmp_gt_i32 s26, 0
	s_mov_b32 s4, 0
	s_cselect_b32 s29, -1, 0
	s_cmp_lt_i32 s26, 1
	s_cbranch_scc1 .LBB23_21
; %bb.14:
	v_mul_lo_u32 v6, v1, s23
	v_mul_hi_u32 v7, v1, s22
	v_mul_lo_u32 v8, v3, s25
	v_mul_hi_u32 v9, v3, s24
	v_mul_lo_u32 v2, v2, s22
	v_mul_lo_u32 v1, v1, s22
	;; [unrolled: 1-line block ×4, first 2 shown]
	s_mul_i32 s2, s21, s13
	v_add_nc_u32_e32 v6, v7, v6
	s_mul_hi_u32 s5, s20, s13
	v_add_nc_u32_e32 v7, v9, v8
	s_mul_i32 s6, s20, s13
	s_add_i32 s5, s5, s2
	v_add_nc_u32_e32 v2, v6, v2
	v_add_co_u32 v1, vcc_lo, v1, s6
	v_add_nc_u32_e32 v4, v7, v4
	s_cmp_lg_u64 s[38:39], 0
	s_delay_alu instid0(VALU_DEP_3) | instskip(NEXT) | instid1(VALU_DEP_3)
	v_add_co_ci_u32_e32 v2, vcc_lo, s5, v2, vcc_lo
	v_add_co_u32 v1, vcc_lo, v1, v3
	s_cselect_b32 s2, -1, 0
	s_delay_alu instid0(VALU_DEP_2) | instskip(SKIP_3) | instid1(VALU_DEP_2)
	v_add_co_ci_u32_e32 v2, vcc_lo, v2, v4, vcc_lo
	s_mul_hi_i32 s7, s27, s28
	s_mul_i32 s6, s27, s28
	v_mov_b32_e32 v6, s3
	v_lshrrev_b64 v[1:2], 2, v[1:2]
	s_lshl_b64 s[10:11], s[6:7], 2
	s_delay_alu instid0(SALU_CYCLE_1) | instskip(SKIP_2) | instid1(VALU_DEP_1)
	s_add_u32 s5, s36, s10
	s_addc_u32 s6, s37, s11
	s_lshl_b32 s7, s17, 2
	v_cndmask_b32_e64 v4, 0, v2, s2
	v_mov_b32_e32 v2, 0
	v_cndmask_b32_e64 v3, 0, v1, s2
	v_lshlrev_b32_e32 v1, 2, v0
	s_add_u32 s9, s42, s10
	s_addc_u32 s10, s43, s11
	s_mov_b32 s11, 0
	v_lshlrev_b64 v[3:4], 2, v[3:4]
	s_delay_alu instid0(VALU_DEP_1) | instskip(NEXT) | instid1(VALU_DEP_2)
	v_add_co_u32 v3, vcc_lo, s38, v3
	v_add_co_ci_u32_e32 v4, vcc_lo, s39, v4, vcc_lo
	s_set_inst_prefetch_distance 0x1
	s_branch .LBB23_17
	.p2align	6
.LBB23_15:                              ;   in Loop: Header=BB23_17 Depth=1
	s_waitcnt vmcnt(0)
	s_delay_alu instid0(VALU_DEP_1) | instskip(SKIP_2) | instid1(VALU_DEP_3)
	v_dual_fmac_f32 v7, s8, v8 :: v_dual_max_f32 v6, v6, v6
	v_add_co_u32 v8, vcc_lo, s9, v1
	v_add_co_ci_u32_e32 v9, vcc_lo, s10, v2, vcc_lo
	v_max_f32_e32 v6, v6, v7
	global_store_b32 v[8:9], v7, off
.LBB23_16:                              ;   in Loop: Header=BB23_17 Depth=1
	s_or_b32 exec_lo, exec_lo, s12
	s_add_i32 s11, s11, s17
	v_add_co_u32 v1, vcc_lo, v1, s7
	s_cmp_ge_i32 s11, s26
	v_add_co_ci_u32_e32 v2, vcc_lo, 0, v2, vcc_lo
	s_cselect_b32 s12, -1, 0
	s_xor_b32 s3, s3, -1
	s_delay_alu instid0(SALU_CYCLE_1) | instskip(NEXT) | instid1(SALU_CYCLE_1)
	s_or_b32 s3, s3, s12
	s_and_b32 s3, exec_lo, s3
	s_delay_alu instid0(SALU_CYCLE_1) | instskip(NEXT) | instid1(SALU_CYCLE_1)
	s_or_b32 s4, s3, s4
	s_and_not1_b32 exec_lo, exec_lo, s4
	s_cbranch_execz .LBB23_20
.LBB23_17:                              ; =>This Inner Loop Header: Depth=1
	v_add_nc_u32_e32 v7, s11, v0
	s_delay_alu instid0(VALU_DEP_1) | instskip(NEXT) | instid1(VALU_DEP_1)
	v_cmp_gt_i32_e64 s3, s26, v7
	s_and_saveexec_b32 s12, s3
	s_cbranch_execz .LBB23_16
; %bb.18:                               ;   in Loop: Header=BB23_17 Depth=1
	v_add_co_u32 v7, vcc_lo, s5, v1
	v_add_co_ci_u32_e32 v8, vcc_lo, s6, v2, vcc_lo
	s_and_not1_b32 vcc_lo, exec_lo, s2
	global_load_b32 v8, v[7:8], off
	v_mov_b32_e32 v7, 0
	s_cbranch_vccnz .LBB23_15
; %bb.19:                               ;   in Loop: Header=BB23_17 Depth=1
	v_add_co_u32 v9, vcc_lo, v3, v1
	v_add_co_ci_u32_e32 v10, vcc_lo, v4, v2, vcc_lo
	global_load_b32 v7, v[9:10], off
	s_waitcnt vmcnt(0)
	v_mul_f32_e32 v7, v5, v7
	s_branch .LBB23_15
.LBB23_20:
	s_set_inst_prefetch_distance 0x2
	s_or_b32 exec_lo, exec_lo, s4
.LBB23_21:
	v_mbcnt_lo_u32_b32 v1, -1, 0
	s_cmp_gt_u32 s17, 32
	s_mov_b32 s22, 0
	s_cselect_b32 s23, -1, 0
	s_cmp_lt_u32 s17, 33
	v_xor_b32_e32 v2, 16, v1
	v_xor_b32_e32 v3, 8, v1
	s_mov_b32 s24, -1
	s_delay_alu instid0(VALU_DEP_2) | instskip(SKIP_1) | instid1(VALU_DEP_3)
	v_cmp_gt_i32_e32 vcc_lo, 32, v2
	v_cndmask_b32_e32 v2, v1, v2, vcc_lo
	v_cmp_gt_i32_e32 vcc_lo, 32, v3
	v_max_f32_e32 v4, v6, v6
	s_delay_alu instid0(VALU_DEP_3) | instskip(SKIP_4) | instid1(VALU_DEP_1)
	v_lshlrev_b32_e32 v41, 2, v2
	v_cndmask_b32_e32 v3, v1, v3, vcc_lo
	ds_bpermute_b32 v2, v41, v6
	s_waitcnt lgkmcnt(0)
	v_max_f32_e32 v2, v2, v2
	v_max_f32_e32 v2, v4, v2
	v_xor_b32_e32 v4, 4, v1
	s_delay_alu instid0(VALU_DEP_1) | instskip(SKIP_1) | instid1(VALU_DEP_1)
	v_cmp_gt_i32_e32 vcc_lo, 32, v4
	v_cndmask_b32_e32 v4, v1, v4, vcc_lo
	v_lshlrev_b32_e32 v43, 2, v4
	v_xor_b32_e32 v4, 2, v1
	s_delay_alu instid0(VALU_DEP_1) | instskip(SKIP_1) | instid1(VALU_DEP_1)
	v_cmp_gt_i32_e32 vcc_lo, 32, v4
	v_cndmask_b32_e32 v4, v1, v4, vcc_lo
	v_lshlrev_b32_e32 v44, 2, v4
	v_xor_b32_e32 v4, 1, v1
	s_delay_alu instid0(VALU_DEP_1)
	v_cmp_gt_i32_e32 vcc_lo, 32, v4
	v_dual_cndmask_b32 v1, v1, v4 :: v_dual_lshlrev_b32 v42, 2, v3
	ds_bpermute_b32 v3, v42, v2
	v_lshlrev_b32_e32 v45, 2, v1
	s_waitcnt lgkmcnt(0)
	v_max_f32_e32 v3, v3, v3
	s_delay_alu instid0(VALU_DEP_1) | instskip(SKIP_3) | instid1(VALU_DEP_1)
	v_max_f32_e32 v2, v2, v3
	ds_bpermute_b32 v3, v43, v2
	s_waitcnt lgkmcnt(0)
	v_max_f32_e32 v3, v3, v3
	v_max_f32_e32 v2, v2, v3
	ds_bpermute_b32 v3, v44, v2
	s_waitcnt lgkmcnt(0)
	v_max_f32_e32 v3, v3, v3
	s_delay_alu instid0(VALU_DEP_1) | instskip(SKIP_3) | instid1(VALU_DEP_1)
	v_max_f32_e32 v2, v2, v3
	ds_bpermute_b32 v1, v45, v2
	s_waitcnt lgkmcnt(0)
	v_max_f32_e32 v1, v1, v1
	v_max_f32_e32 v46, v2, v1
	s_cbranch_scc1 .LBB23_30
; %bb.22:
	s_cmpk_gt_u32 s17, 0x400
	s_mov_b32 s24, 0
	s_cselect_b32 s2, -1, 0
	s_and_b32 s3, s17, 31
	s_delay_alu instid0(SALU_CYCLE_1) | instskip(SKIP_1) | instid1(SALU_CYCLE_1)
	s_cmp_lg_u32 s3, 0
	s_cselect_b32 s3, -1, 0
	s_or_b32 s3, s2, s3
	s_mov_b32 s2, -1
	s_and_b32 vcc_lo, exec_lo, s3
	s_mov_b32 s3, 0
	s_cbranch_vccz .LBB23_24
; %bb.23:
	s_add_u32 s8, s0, 0xa0
	s_addc_u32 s9, s1, 0
	s_getpc_b64 s[2:3]
	s_add_u32 s2, s2, .str.2@rel32@lo+4
	s_addc_u32 s3, s3, .str.2@rel32@hi+12
	s_getpc_b64 s[4:5]
	s_add_u32 s4, s4, .str.3@rel32@lo+4
	s_addc_u32 s5, s5, .str.3@rel32@hi+12
	s_getpc_b64 s[6:7]
	s_add_u32 s6, s6, __PRETTY_FUNCTION__._ZL12block_reduceIL19block_reduce_method0ELj0EfET1_S1_PS1_@rel32@lo+4
	s_addc_u32 s7, s7, __PRETTY_FUNCTION__._ZL12block_reduceIL19block_reduce_method0ELj0EfET1_S1_PS1_@rel32@hi+12
	v_dual_mov_b32 v47, v0 :: v_dual_mov_b32 v0, s2
	v_dual_mov_b32 v1, s3 :: v_dual_mov_b32 v2, s4
	v_dual_mov_b32 v3, s5 :: v_dual_mov_b32 v4, 0x271
	v_dual_mov_b32 v5, s6 :: v_dual_mov_b32 v6, s7
	s_getpc_b64 s[10:11]
	s_add_u32 s10, s10, __assert_fail@rel32@lo+4
	s_addc_u32 s11, s11, __assert_fail@rel32@hi+12
	s_mov_b64 s[20:21], s[0:1]
	s_swappc_b64 s[30:31], s[10:11]
	v_mov_b32_e32 v0, v47
	s_mov_b64 s[0:1], s[20:21]
	s_mov_b32 s2, 0
	s_mov_b32 s3, -1
.LBB23_24:
	s_and_not1_b32 vcc_lo, exec_lo, s2
	s_cbranch_vccnz .LBB23_37
; %bb.25:
	v_and_b32_e32 v1, 31, v0
	s_mov_b32 s2, exec_lo
	s_delay_alu instid0(VALU_DEP_1)
	v_cmpx_eq_u32_e32 0, v1
	s_cbranch_execz .LBB23_27
; %bb.26:
	v_lshrrev_b32_e32 v2, 3, v0
	s_delay_alu instid0(VALU_DEP_1)
	v_add_nc_u32_e32 v2, 0, v2
	ds_store_b32 v2, v46
.LBB23_27:
	s_or_b32 exec_lo, exec_lo, s2
	s_lshr_b32 s2, s17, 5
	v_mov_b32_e32 v2, 0xff800000
	v_cmp_gt_u32_e32 vcc_lo, s2, v1
	s_waitcnt lgkmcnt(0)
	s_waitcnt_vscnt null, 0x0
	s_barrier
	buffer_gl0_inv
	s_and_saveexec_b32 s2, vcc_lo
	s_cbranch_execz .LBB23_29
; %bb.28:
	v_lshl_add_u32 v1, v1, 2, 0
	ds_load_b32 v2, v1
.LBB23_29:
	s_or_b32 exec_lo, exec_lo, s2
	s_waitcnt lgkmcnt(0)
	ds_bpermute_b32 v1, v41, v2
	s_waitcnt lgkmcnt(0)
	v_dual_max_f32 v2, v2, v2 :: v_dual_max_f32 v1, v1, v1
	s_delay_alu instid0(VALU_DEP_1) | instskip(SKIP_3) | instid1(VALU_DEP_1)
	v_max_f32_e32 v1, v2, v1
	ds_bpermute_b32 v2, v42, v1
	s_waitcnt lgkmcnt(0)
	v_max_f32_e32 v2, v2, v2
	v_max_f32_e32 v1, v1, v2
	ds_bpermute_b32 v2, v43, v1
	s_waitcnt lgkmcnt(0)
	v_max_f32_e32 v2, v2, v2
	s_delay_alu instid0(VALU_DEP_1) | instskip(SKIP_3) | instid1(VALU_DEP_1)
	v_max_f32_e32 v1, v1, v2
	ds_bpermute_b32 v2, v44, v1
	s_waitcnt lgkmcnt(0)
	v_max_f32_e32 v2, v2, v2
	v_max_f32_e32 v1, v1, v2
	ds_bpermute_b32 v2, v45, v1
	s_waitcnt lgkmcnt(0)
	v_max_f32_e32 v2, v2, v2
	s_delay_alu instid0(VALU_DEP_1)
	v_max_f32_e32 v46, v1, v2
	s_cbranch_execnz .LBB23_31
	s_branch .LBB23_38
.LBB23_30:
	s_mov_b32 s3, 0
	s_and_b32 vcc_lo, exec_lo, s24
	s_cbranch_vccz .LBB23_38
.LBB23_31:
	s_and_not1_b32 vcc_lo, exec_lo, s29
	s_cbranch_vccnz .LBB23_39
; %bb.32:
	s_mul_hi_i32 s5, s27, s28
	s_mul_i32 s4, s27, s28
	v_lshlrev_b32_e32 v1, 2, v0
	s_lshl_b64 s[4:5], s[4:5], 2
	v_mov_b32_e32 v3, 0
	s_add_u32 s2, s42, s4
	s_addc_u32 s4, s43, s5
	v_add_co_u32 v1, s2, s2, v1
	s_delay_alu instid0(VALU_DEP_1)
	v_add_co_ci_u32_e64 v2, null, s4, 0, s2
	s_mov_b32 s4, 0
	s_lshl_b32 s5, s17, 2
	s_mov_b32 s6, 0
	s_branch .LBB23_34
.LBB23_33:                              ;   in Loop: Header=BB23_34 Depth=1
	s_or_b32 exec_lo, exec_lo, s7
	s_add_i32 s6, s6, s17
	s_delay_alu instid0(SALU_CYCLE_1)
	s_cmp_ge_i32 s6, s26
	s_cselect_b32 s2, -1, 0
	s_xor_b32 s7, vcc_lo, -1
	v_add_co_u32 v1, vcc_lo, v1, s5
	s_or_b32 s2, s7, s2
	v_add_co_ci_u32_e32 v2, vcc_lo, 0, v2, vcc_lo
	s_and_b32 s2, exec_lo, s2
	s_delay_alu instid0(SALU_CYCLE_1) | instskip(NEXT) | instid1(SALU_CYCLE_1)
	s_or_b32 s4, s2, s4
	s_and_not1_b32 exec_lo, exec_lo, s4
	s_cbranch_execz .LBB23_36
.LBB23_34:                              ; =>This Inner Loop Header: Depth=1
	v_add_nc_u32_e32 v4, s6, v0
	s_delay_alu instid0(VALU_DEP_1)
	v_cmp_gt_i32_e32 vcc_lo, s26, v4
	s_and_saveexec_b32 s7, vcc_lo
	s_cbranch_execz .LBB23_33
; %bb.35:                               ;   in Loop: Header=BB23_34 Depth=1
	global_load_b32 v4, v[1:2], off
	s_waitcnt vmcnt(0)
	v_sub_f32_e32 v4, v4, v46
	s_delay_alu instid0(VALU_DEP_1) | instskip(NEXT) | instid1(VALU_DEP_1)
	v_mul_f32_e32 v5, 0x3fb8aa3b, v4
	v_fma_f32 v6, 0x3fb8aa3b, v4, -v5
	v_rndne_f32_e32 v7, v5
	s_delay_alu instid0(VALU_DEP_1) | instskip(SKIP_1) | instid1(VALU_DEP_2)
	v_dual_sub_f32 v5, v5, v7 :: v_dual_fmac_f32 v6, 0x32a5705f, v4
	v_cmp_ngt_f32_e64 s2, 0xc2ce8ed0, v4
	v_add_f32_e32 v5, v5, v6
	v_cvt_i32_f32_e32 v6, v7
	s_delay_alu instid0(VALU_DEP_2) | instskip(SKIP_2) | instid1(VALU_DEP_1)
	v_exp_f32_e32 v5, v5
	s_waitcnt_depctr 0xfff
	v_ldexp_f32 v5, v5, v6
	v_cndmask_b32_e64 v5, 0, v5, s2
	v_cmp_nlt_f32_e64 s2, 0x42b17218, v4
	s_delay_alu instid0(VALU_DEP_1) | instskip(NEXT) | instid1(VALU_DEP_1)
	v_cndmask_b32_e64 v4, 0x7f800000, v5, s2
	v_add_f32_e32 v3, v3, v4
	global_store_b32 v[1:2], v4, off
	s_branch .LBB23_33
.LBB23_36:
	s_or_b32 exec_lo, exec_lo, s4
	s_branch .LBB23_40
.LBB23_37:
                                        ; implicit-def: $vgpr46
	s_and_b32 vcc_lo, exec_lo, s24
	s_cbranch_vccnz .LBB23_31
.LBB23_38:
	s_mov_b32 s2, 0
                                        ; implicit-def: $vgpr47
	s_branch .LBB23_44
.LBB23_39:
	v_mov_b32_e32 v3, 0
.LBB23_40:
	ds_bpermute_b32 v1, v41, v3
	s_and_not1_b32 vcc_lo, exec_lo, s23
	s_waitcnt lgkmcnt(0)
	v_add_f32_e32 v1, v3, v1
	ds_bpermute_b32 v2, v42, v1
	s_waitcnt lgkmcnt(0)
	v_add_f32_e32 v1, v1, v2
	ds_bpermute_b32 v2, v43, v1
	;; [unrolled: 3-line block ×4, first 2 shown]
	s_waitcnt lgkmcnt(0)
	v_add_f32_e32 v47, v1, v2
	s_cbranch_vccnz .LBB23_43
; %bb.41:
	s_cmpk_gt_u32 s17, 0x400
	s_mov_b32 s22, 0
	s_cselect_b32 s2, -1, 0
	s_and_b32 s4, s17, 31
	s_delay_alu instid0(SALU_CYCLE_1) | instskip(SKIP_1) | instid1(SALU_CYCLE_1)
	s_cmp_lg_u32 s4, 0
	s_cselect_b32 s4, -1, 0
	s_or_b32 s2, s2, s4
	s_delay_alu instid0(SALU_CYCLE_1)
	s_and_b32 vcc_lo, exec_lo, s2
	s_mov_b32 s2, -1
	s_cbranch_vccz .LBB23_44
; %bb.42:
	s_add_u32 s8, s0, 0xa0
	s_addc_u32 s9, s1, 0
	s_getpc_b64 s[0:1]
	s_add_u32 s0, s0, .str.2@rel32@lo+4
	s_addc_u32 s1, s1, .str.2@rel32@hi+12
	s_getpc_b64 s[2:3]
	s_add_u32 s2, s2, .str.3@rel32@lo+4
	s_addc_u32 s3, s3, .str.3@rel32@hi+12
	s_getpc_b64 s[4:5]
	s_add_u32 s4, s4, __PRETTY_FUNCTION__._ZL12block_reduceIL19block_reduce_method1ELj0EfET1_S1_PS1_@rel32@lo+4
	s_addc_u32 s5, s5, __PRETTY_FUNCTION__._ZL12block_reduceIL19block_reduce_method1ELj0EfET1_S1_PS1_@rel32@hi+12
	v_dual_mov_b32 v53, v0 :: v_dual_mov_b32 v0, s0
	v_dual_mov_b32 v1, s1 :: v_dual_mov_b32 v2, s2
	;; [unrolled: 1-line block ×4, first 2 shown]
	s_getpc_b64 s[6:7]
	s_add_u32 s6, s6, __assert_fail@rel32@lo+4
	s_addc_u32 s7, s7, __assert_fail@rel32@hi+12
	s_delay_alu instid0(SALU_CYCLE_1)
	s_swappc_b64 s[30:31], s[6:7]
	v_mov_b32_e32 v0, v53
	s_mov_b32 s3, -1
	s_mov_b32 s2, 0
	s_branch .LBB23_44
.LBB23_43:
	s_mov_b32 s2, 0
	s_mov_b32 s22, -1
.LBB23_44:
	s_and_b32 vcc_lo, exec_lo, s3
	s_cbranch_vccnz .LBB23_47
; %bb.45:
	s_and_not1_b32 vcc_lo, exec_lo, s2
	s_cbranch_vccz .LBB23_48
.LBB23_46:
	s_and_b32 vcc_lo, exec_lo, s22
	s_cbranch_vccnz .LBB23_53
	s_branch .LBB23_60
.LBB23_47:
	; divergent unreachable
	s_and_not1_b32 vcc_lo, exec_lo, s2
	s_cbranch_vccnz .LBB23_46
.LBB23_48:
	v_and_b32_e32 v1, 31, v0
	s_mov_b32 s0, exec_lo
	s_delay_alu instid0(VALU_DEP_1)
	v_cmpx_eq_u32_e32 0, v1
	s_cbranch_execz .LBB23_50
; %bb.49:
	v_lshrrev_b32_e32 v2, 3, v0
	s_delay_alu instid0(VALU_DEP_1)
	v_add_nc_u32_e32 v2, 0, v2
	ds_store_b32 v2, v47
.LBB23_50:
	s_or_b32 exec_lo, exec_lo, s0
	s_lshr_b32 s0, s17, 5
	v_mov_b32_e32 v2, 0
	v_cmp_gt_u32_e32 vcc_lo, s0, v1
	s_waitcnt lgkmcnt(0)
	s_waitcnt_vscnt null, 0x0
	s_barrier
	buffer_gl0_inv
	s_and_saveexec_b32 s0, vcc_lo
	s_cbranch_execz .LBB23_52
; %bb.51:
	v_lshl_add_u32 v1, v1, 2, 0
	ds_load_b32 v2, v1
.LBB23_52:
	s_or_b32 exec_lo, exec_lo, s0
	s_waitcnt lgkmcnt(0)
	ds_bpermute_b32 v1, v41, v2
	s_waitcnt lgkmcnt(0)
	v_add_f32_e32 v1, v2, v1
	ds_bpermute_b32 v2, v42, v1
	s_waitcnt lgkmcnt(0)
	v_add_f32_e32 v1, v1, v2
	;; [unrolled: 3-line block ×5, first 2 shown]
	s_cbranch_execz .LBB23_60
.LBB23_53:
	s_and_not1_b32 vcc_lo, exec_lo, s34
	s_cbranch_vccnz .LBB23_55
; %bb.54:
	s_lshl_b64 s[0:1], s[18:19], 2
	v_mov_b32_e32 v1, 0
	s_add_u32 s0, s40, s0
	s_addc_u32 s1, s41, s1
	global_load_b32 v1, v1, s[0:1]
	s_waitcnt vmcnt(0)
	v_sub_f32_e32 v1, v1, v46
	s_delay_alu instid0(VALU_DEP_1) | instskip(NEXT) | instid1(VALU_DEP_1)
	v_mul_f32_e32 v2, 0x3fb8aa3b, v1
	v_fma_f32 v3, 0x3fb8aa3b, v1, -v2
	v_rndne_f32_e32 v4, v2
	s_delay_alu instid0(VALU_DEP_1) | instskip(NEXT) | instid1(VALU_DEP_1)
	v_dual_fmamk_f32 v3, v1, 0x32a5705f, v3 :: v_dual_sub_f32 v2, v2, v4
	v_add_f32_e32 v2, v2, v3
	v_cvt_i32_f32_e32 v3, v4
	v_cmp_ngt_f32_e32 vcc_lo, 0xc2ce8ed0, v1
	s_delay_alu instid0(VALU_DEP_3) | instskip(SKIP_2) | instid1(VALU_DEP_1)
	v_exp_f32_e32 v2, v2
	s_waitcnt_depctr 0xfff
	v_ldexp_f32 v2, v2, v3
	v_cndmask_b32_e32 v2, 0, v2, vcc_lo
	v_cmp_nlt_f32_e32 vcc_lo, 0x42b17218, v1
	s_delay_alu instid0(VALU_DEP_2) | instskip(NEXT) | instid1(VALU_DEP_1)
	v_cndmask_b32_e32 v1, 0x7f800000, v2, vcc_lo
	v_add_f32_e32 v47, v47, v1
.LBB23_55:
	s_and_not1_b32 vcc_lo, exec_lo, s29
	s_cbranch_vccnz .LBB23_60
; %bb.56:
	s_delay_alu instid0(VALU_DEP_1) | instskip(SKIP_2) | instid1(VALU_DEP_2)
	v_div_scale_f32 v1, null, v47, v47, 1.0
	v_div_scale_f32 v4, vcc_lo, 1.0, v47, 1.0
	s_mul_hi_i32 s1, s27, s28
	v_rcp_f32_e32 v2, v1
	s_mul_i32 s0, s27, s28
	s_mov_b32 s2, 0
	s_lshl_b64 s[0:1], s[0:1], 2
                                        ; implicit-def: $sgpr3
	s_delay_alu instid0(SALU_CYCLE_1) | instskip(SKIP_3) | instid1(VALU_DEP_1)
	s_add_u32 s0, s42, s0
	s_addc_u32 s1, s43, s1
	s_waitcnt_depctr 0xfff
	v_fma_f32 v3, -v1, v2, 1.0
	v_fmac_f32_e32 v2, v3, v2
	s_delay_alu instid0(VALU_DEP_1) | instskip(NEXT) | instid1(VALU_DEP_1)
	v_mul_f32_e32 v3, v4, v2
	v_fma_f32 v5, -v1, v3, v4
	s_delay_alu instid0(VALU_DEP_1) | instskip(NEXT) | instid1(VALU_DEP_1)
	v_fmac_f32_e32 v3, v5, v2
	v_fma_f32 v1, -v1, v3, v4
	s_delay_alu instid0(VALU_DEP_1) | instskip(SKIP_1) | instid1(VALU_DEP_2)
	v_div_fmas_f32 v1, v1, v2, v3
	v_lshlrev_b32_e32 v2, 2, v0
	v_div_fixup_f32 v3, v1, v47, 1.0
	s_delay_alu instid0(VALU_DEP_2) | instskip(NEXT) | instid1(VALU_DEP_1)
	v_add_co_u32 v1, s0, s0, v2
	v_add_co_ci_u32_e64 v2, null, s1, 0, s0
	s_mov_b32 s0, 0
	s_lshl_b32 s1, s17, 2
	s_set_inst_prefetch_distance 0x1
	s_branch .LBB23_58
	.p2align	6
.LBB23_57:                              ;   in Loop: Header=BB23_58 Depth=1
	s_or_b32 exec_lo, exec_lo, s4
	s_delay_alu instid0(SALU_CYCLE_1) | instskip(NEXT) | instid1(SALU_CYCLE_1)
	s_and_b32 s4, exec_lo, s3
	s_or_b32 s0, s4, s0
	s_delay_alu instid0(SALU_CYCLE_1)
	s_and_not1_b32 exec_lo, exec_lo, s0
	s_cbranch_execz .LBB23_60
.LBB23_58:                              ; =>This Inner Loop Header: Depth=1
	v_add_nc_u32_e32 v4, s2, v0
	s_or_b32 s3, s3, exec_lo
	s_mov_b32 s4, exec_lo
	s_delay_alu instid0(VALU_DEP_1)
	v_cmpx_gt_i32_e64 s26, v4
	s_cbranch_execz .LBB23_57
; %bb.59:                               ;   in Loop: Header=BB23_58 Depth=1
	global_load_b32 v4, v[1:2], off
	s_add_i32 s2, s2, s17
	s_delay_alu instid0(SALU_CYCLE_1) | instskip(SKIP_3) | instid1(SALU_CYCLE_1)
	s_cmp_ge_i32 s2, s26
	s_cselect_b32 s5, -1, 0
	s_and_not1_b32 s3, s3, exec_lo
	s_and_b32 s5, s5, exec_lo
	s_or_b32 s3, s3, s5
	s_waitcnt vmcnt(0)
	v_mul_f32_e32 v4, v3, v4
	global_store_b32 v[1:2], v4, off
	v_add_co_u32 v1, vcc_lo, v1, s1
	v_add_co_ci_u32_e32 v2, vcc_lo, 0, v2, vcc_lo
	s_branch .LBB23_57
.LBB23_60:
	s_set_inst_prefetch_distance 0x2
	s_endpgm
	.section	.rodata,"a",@progbits
	.p2align	6, 0x0
	.amdhsa_kernel _ZL12soft_max_f32ILb0ELi0ELi0EfEvPKfPKT2_S1_Pf15soft_max_params
		.amdhsa_group_segment_fixed_size 0
		.amdhsa_private_segment_fixed_size 64
		.amdhsa_kernarg_size 416
		.amdhsa_user_sgpr_count 13
		.amdhsa_user_sgpr_dispatch_ptr 0
		.amdhsa_user_sgpr_queue_ptr 0
		.amdhsa_user_sgpr_kernarg_segment_ptr 1
		.amdhsa_user_sgpr_dispatch_id 0
		.amdhsa_user_sgpr_private_segment_size 0
		.amdhsa_wavefront_size32 1
		.amdhsa_uses_dynamic_stack 0
		.amdhsa_enable_private_segment 1
		.amdhsa_system_sgpr_workgroup_id_x 1
		.amdhsa_system_sgpr_workgroup_id_y 1
		.amdhsa_system_sgpr_workgroup_id_z 1
		.amdhsa_system_sgpr_workgroup_info 0
		.amdhsa_system_vgpr_workitem_id 0
		.amdhsa_next_free_vgpr 54
		.amdhsa_next_free_sgpr 44
		.amdhsa_reserve_vcc 1
		.amdhsa_float_round_mode_32 0
		.amdhsa_float_round_mode_16_64 0
		.amdhsa_float_denorm_mode_32 3
		.amdhsa_float_denorm_mode_16_64 3
		.amdhsa_dx10_clamp 1
		.amdhsa_ieee_mode 1
		.amdhsa_fp16_overflow 0
		.amdhsa_workgroup_processor_mode 1
		.amdhsa_memory_ordered 1
		.amdhsa_forward_progress 0
		.amdhsa_shared_vgpr_count 0
		.amdhsa_exception_fp_ieee_invalid_op 0
		.amdhsa_exception_fp_denorm_src 0
		.amdhsa_exception_fp_ieee_div_zero 0
		.amdhsa_exception_fp_ieee_overflow 0
		.amdhsa_exception_fp_ieee_underflow 0
		.amdhsa_exception_fp_ieee_inexact 0
		.amdhsa_exception_int_div_zero 0
	.end_amdhsa_kernel
	.section	.text._ZL12soft_max_f32ILb0ELi0ELi0EfEvPKfPKT2_S1_Pf15soft_max_params,"axG",@progbits,_ZL12soft_max_f32ILb0ELi0ELi0EfEvPKfPKT2_S1_Pf15soft_max_params,comdat
.Lfunc_end23:
	.size	_ZL12soft_max_f32ILb0ELi0ELi0EfEvPKfPKT2_S1_Pf15soft_max_params, .Lfunc_end23-_ZL12soft_max_f32ILb0ELi0ELi0EfEvPKfPKT2_S1_Pf15soft_max_params
                                        ; -- End function
	.section	.AMDGPU.csdata,"",@progbits
; Kernel info:
; codeLenInByte = 5400
; NumSgprs: 46
; NumVgprs: 54
; ScratchSize: 64
; MemoryBound: 0
; FloatMode: 240
; IeeeMode: 1
; LDSByteSize: 0 bytes/workgroup (compile time only)
; SGPRBlocks: 5
; VGPRBlocks: 6
; NumSGPRsForWavesPerEU: 46
; NumVGPRsForWavesPerEU: 54
; Occupancy: 16
; WaveLimiterHint : 1
; COMPUTE_PGM_RSRC2:SCRATCH_EN: 1
; COMPUTE_PGM_RSRC2:USER_SGPR: 13
; COMPUTE_PGM_RSRC2:TRAP_HANDLER: 0
; COMPUTE_PGM_RSRC2:TGID_X_EN: 1
; COMPUTE_PGM_RSRC2:TGID_Y_EN: 1
; COMPUTE_PGM_RSRC2:TGID_Z_EN: 1
; COMPUTE_PGM_RSRC2:TIDIG_COMP_CNT: 0
	.text
	.p2alignl 7, 3214868480
	.fill 96, 4, 3214868480
	.type	__const.__assert_fail.fmt,@object ; @__const.__assert_fail.fmt
	.section	.rodata.str1.16,"aMS",@progbits,1
	.p2align	4, 0x0
__const.__assert_fail.fmt:
	.asciz	"%s:%u: %s: Device-side assertion `%s' failed.\n"
	.size	__const.__assert_fail.fmt, 47

	.type	.str,@object                    ; @.str
	.section	.rodata.str1.1,"aMS",@progbits,1
.str:
	.asciz	"gridDim.x < blockDim.x"
	.size	.str, 23

	.type	.str.1,@object                  ; @.str.1
.str.1:
	.asciz	"/root/src/amdgpu-assembly/repos/ggml-org__llama.cpp/ggml/src/ggml-cuda/softmax.cu"
	.size	.str.1, 82

	.type	__PRETTY_FUNCTION__._ZL40soft_max_f32_parallelize_cols_single_rowPKfPfS1_S1_15soft_max_params,@object ; @__PRETTY_FUNCTION__._ZL40soft_max_f32_parallelize_cols_single_rowPKfPfS1_S1_15soft_max_params
__PRETTY_FUNCTION__._ZL40soft_max_f32_parallelize_cols_single_rowPKfPfS1_S1_15soft_max_params:
	.asciz	"void soft_max_f32_parallelize_cols_single_row(const float *__restrict, float *__restrict, float *__restrict, float *__restrict, const soft_max_params)"
	.size	__PRETTY_FUNCTION__._ZL40soft_max_f32_parallelize_cols_single_rowPKfPfS1_S1_15soft_max_params, 151

	.type	.str.2,@object                  ; @.str.2
.str.2:
	.asciz	"(block_size <= 1024) && (block_size % WARP_SIZE) == 0"
	.size	.str.2, 54

	.type	.str.3,@object                  ; @.str.3
.str.3:
	.asciz	"/root/src/amdgpu-assembly/repos/ggml-org__llama.cpp/ggml/src/ggml-cuda/common.cuh"
	.size	.str.3, 82

	.type	__PRETTY_FUNCTION__._ZL12block_reduceIL19block_reduce_method0ELj0EfET1_S1_PS1_,@object ; @__PRETTY_FUNCTION__._ZL12block_reduceIL19block_reduce_method0ELj0EfET1_S1_PS1_
__PRETTY_FUNCTION__._ZL12block_reduceIL19block_reduce_method0ELj0EfET1_S1_PS1_:
	.asciz	"T block_reduce(T, T *) [reduce_method_t = block_reduce_method::MAX, block_size_template = 0U, T = float]"
	.size	__PRETTY_FUNCTION__._ZL12block_reduceIL19block_reduce_method0ELj0EfET1_S1_PS1_, 105

	.type	__PRETTY_FUNCTION__._ZL12block_reduceIL19block_reduce_method1ELj0EfET1_S1_PS1_,@object ; @__PRETTY_FUNCTION__._ZL12block_reduceIL19block_reduce_method1ELj0EfET1_S1_PS1_
__PRETTY_FUNCTION__._ZL12block_reduceIL19block_reduce_method1ELj0EfET1_S1_PS1_:
	.asciz	"T block_reduce(T, T *) [reduce_method_t = block_reduce_method::SUM, block_size_template = 0U, T = float]"
	.size	__PRETTY_FUNCTION__._ZL12block_reduceIL19block_reduce_method1ELj0EfET1_S1_PS1_, 105

	.type	__hip_cuid_bc637d3b4d4bdb73,@object ; @__hip_cuid_bc637d3b4d4bdb73
	.section	.bss,"aw",@nobits
	.globl	__hip_cuid_bc637d3b4d4bdb73
__hip_cuid_bc637d3b4d4bdb73:
	.byte	0                               ; 0x0
	.size	__hip_cuid_bc637d3b4d4bdb73, 1

	.ident	"AMD clang version 19.0.0git (https://github.com/RadeonOpenCompute/llvm-project roc-6.4.0 25133 c7fe45cf4b819c5991fe208aaa96edf142730f1d)"
	.section	".note.GNU-stack","",@progbits
	.addrsig
	.addrsig_sym __hip_cuid_bc637d3b4d4bdb73
	.amdgpu_metadata
---
amdhsa.kernels:
  - .args:
      - .address_space:  global
        .offset:         0
        .size:           8
        .value_kind:     global_buffer
      - .address_space:  global
        .offset:         8
        .size:           8
        .value_kind:     global_buffer
      - .address_space:  global
        .offset:         16
        .size:           8
        .value_kind:     global_buffer
      - .offset:         24
        .size:           4
        .value_kind:     by_value
      - .offset:         28
        .size:           4
        .value_kind:     by_value
    .group_segment_fixed_size: 0
    .kernarg_segment_align: 8
    .kernarg_segment_size: 32
    .language:       OpenCL C
    .language_version:
      - 2
      - 0
    .max_flat_workgroup_size: 1024
    .name:           _ZL17soft_max_back_f32PKfS0_Pfif
    .private_segment_fixed_size: 0
    .sgpr_count:     18
    .sgpr_spill_count: 0
    .symbol:         _ZL17soft_max_back_f32PKfS0_Pfif.kd
    .uniform_work_group_size: 1
    .uses_dynamic_stack: false
    .vgpr_count:     10
    .vgpr_spill_count: 0
    .wavefront_size: 32
    .workgroup_processor_mode: 1
  - .args:
      - .actual_access:  read_only
        .address_space:  global
        .offset:         0
        .size:           8
        .value_kind:     global_buffer
      - .address_space:  global
        .offset:         8
        .size:           8
        .value_kind:     global_buffer
      - .address_space:  global
        .offset:         16
        .size:           8
        .value_kind:     global_buffer
      - .address_space:  global
        .offset:         24
        .size:           8
        .value_kind:     global_buffer
      - .offset:         32
        .size:           128
        .value_kind:     by_value
      - .offset:         160
        .size:           4
        .value_kind:     hidden_block_count_x
      - .offset:         164
        .size:           4
        .value_kind:     hidden_block_count_y
      - .offset:         168
        .size:           4
        .value_kind:     hidden_block_count_z
      - .offset:         172
        .size:           2
        .value_kind:     hidden_group_size_x
      - .offset:         174
        .size:           2
        .value_kind:     hidden_group_size_y
      - .offset:         176
        .size:           2
        .value_kind:     hidden_group_size_z
      - .offset:         178
        .size:           2
        .value_kind:     hidden_remainder_x
      - .offset:         180
        .size:           2
        .value_kind:     hidden_remainder_y
      - .offset:         182
        .size:           2
        .value_kind:     hidden_remainder_z
      - .offset:         200
        .size:           8
        .value_kind:     hidden_global_offset_x
      - .offset:         208
        .size:           8
        .value_kind:     hidden_global_offset_y
      - .offset:         216
        .size:           8
        .value_kind:     hidden_global_offset_z
      - .offset:         224
        .size:           2
        .value_kind:     hidden_grid_dims
      - .offset:         240
        .size:           8
        .value_kind:     hidden_hostcall_buffer
      - .offset:         248
        .size:           8
        .value_kind:     hidden_multigrid_sync_arg
    .group_segment_fixed_size: 128
    .kernarg_segment_align: 8
    .kernarg_segment_size: 416
    .language:       OpenCL C
    .language_version:
      - 2
      - 0
    .max_flat_workgroup_size: 256
    .name:           _ZL29soft_max_f32_parallelize_colsPKfPfS1_S1_15soft_max_params
    .private_segment_fixed_size: 64
    .sgpr_count:     44
    .sgpr_spill_count: 0
    .symbol:         _ZL29soft_max_f32_parallelize_colsPKfPfS1_S1_15soft_max_params.kd
    .uniform_work_group_size: 1
    .uses_dynamic_stack: false
    .vgpr_count:     53
    .vgpr_spill_count: 0
    .wavefront_size: 32
    .workgroup_processor_mode: 1
  - .args:
      - .address_space:  global
        .offset:         0
        .size:           8
        .value_kind:     global_buffer
      - .address_space:  global
        .offset:         8
        .size:           8
        .value_kind:     global_buffer
      - .address_space:  global
        .offset:         16
        .size:           8
        .value_kind:     global_buffer
      - .address_space:  global
        .offset:         24
        .size:           8
        .value_kind:     global_buffer
      - .offset:         32
        .size:           128
        .value_kind:     by_value
      - .offset:         160
        .size:           4
        .value_kind:     hidden_block_count_x
      - .offset:         164
        .size:           4
        .value_kind:     hidden_block_count_y
      - .offset:         168
        .size:           4
        .value_kind:     hidden_block_count_z
      - .offset:         172
        .size:           2
        .value_kind:     hidden_group_size_x
      - .offset:         174
        .size:           2
        .value_kind:     hidden_group_size_y
      - .offset:         176
        .size:           2
        .value_kind:     hidden_group_size_z
      - .offset:         178
        .size:           2
        .value_kind:     hidden_remainder_x
      - .offset:         180
        .size:           2
        .value_kind:     hidden_remainder_y
      - .offset:         182
        .size:           2
        .value_kind:     hidden_remainder_z
      - .offset:         200
        .size:           8
        .value_kind:     hidden_global_offset_x
      - .offset:         208
        .size:           8
        .value_kind:     hidden_global_offset_y
      - .offset:         216
        .size:           8
        .value_kind:     hidden_global_offset_z
      - .offset:         224
        .size:           2
        .value_kind:     hidden_grid_dims
      - .offset:         280
        .size:           4
        .value_kind:     hidden_dynamic_lds_size
    .group_segment_fixed_size: 0
    .kernarg_segment_align: 8
    .kernarg_segment_size: 416
    .language:       OpenCL C
    .language_version:
      - 2
      - 0
    .max_flat_workgroup_size: 1024
    .name:           _ZL12soft_max_f32ILb1ELi4096ELi1024E6__halfEvPKfPKT2_S2_Pf15soft_max_params
    .private_segment_fixed_size: 0
    .sgpr_count:     30
    .sgpr_spill_count: 0
    .symbol:         _ZL12soft_max_f32ILb1ELi4096ELi1024E6__halfEvPKfPKT2_S2_Pf15soft_max_params.kd
    .uniform_work_group_size: 1
    .uses_dynamic_stack: false
    .vgpr_count:     29
    .vgpr_spill_count: 0
    .wavefront_size: 32
    .workgroup_processor_mode: 1
  - .args:
      - .address_space:  global
        .offset:         0
        .size:           8
        .value_kind:     global_buffer
      - .address_space:  global
        .offset:         8
        .size:           8
        .value_kind:     global_buffer
      - .address_space:  global
        .offset:         16
        .size:           8
        .value_kind:     global_buffer
      - .address_space:  global
        .offset:         24
        .size:           8
        .value_kind:     global_buffer
      - .offset:         32
        .size:           128
        .value_kind:     by_value
      - .offset:         160
        .size:           4
        .value_kind:     hidden_block_count_x
      - .offset:         164
        .size:           4
        .value_kind:     hidden_block_count_y
      - .offset:         168
        .size:           4
        .value_kind:     hidden_block_count_z
      - .offset:         172
        .size:           2
        .value_kind:     hidden_group_size_x
      - .offset:         174
        .size:           2
        .value_kind:     hidden_group_size_y
      - .offset:         176
        .size:           2
        .value_kind:     hidden_group_size_z
      - .offset:         178
        .size:           2
        .value_kind:     hidden_remainder_x
      - .offset:         180
        .size:           2
        .value_kind:     hidden_remainder_y
      - .offset:         182
        .size:           2
        .value_kind:     hidden_remainder_z
      - .offset:         200
        .size:           8
        .value_kind:     hidden_global_offset_x
      - .offset:         208
        .size:           8
        .value_kind:     hidden_global_offset_y
      - .offset:         216
        .size:           8
        .value_kind:     hidden_global_offset_z
      - .offset:         224
        .size:           2
        .value_kind:     hidden_grid_dims
      - .offset:         280
        .size:           4
        .value_kind:     hidden_dynamic_lds_size
    .group_segment_fixed_size: 0
    .kernarg_segment_align: 8
    .kernarg_segment_size: 416
    .language:       OpenCL C
    .language_version:
      - 2
      - 0
    .max_flat_workgroup_size: 1024
    .name:           _ZL12soft_max_f32ILb1ELi2048ELi1024E6__halfEvPKfPKT2_S2_Pf15soft_max_params
    .private_segment_fixed_size: 0
    .sgpr_count:     30
    .sgpr_spill_count: 0
    .symbol:         _ZL12soft_max_f32ILb1ELi2048ELi1024E6__halfEvPKfPKT2_S2_Pf15soft_max_params.kd
    .uniform_work_group_size: 1
    .uses_dynamic_stack: false
    .vgpr_count:     20
    .vgpr_spill_count: 0
    .wavefront_size: 32
    .workgroup_processor_mode: 1
  - .args:
      - .address_space:  global
        .offset:         0
        .size:           8
        .value_kind:     global_buffer
      - .address_space:  global
        .offset:         8
        .size:           8
        .value_kind:     global_buffer
      - .address_space:  global
        .offset:         16
        .size:           8
        .value_kind:     global_buffer
      - .address_space:  global
        .offset:         24
        .size:           8
        .value_kind:     global_buffer
      - .offset:         32
        .size:           128
        .value_kind:     by_value
      - .offset:         160
        .size:           4
        .value_kind:     hidden_block_count_x
      - .offset:         164
        .size:           4
        .value_kind:     hidden_block_count_y
      - .offset:         168
        .size:           4
        .value_kind:     hidden_block_count_z
      - .offset:         172
        .size:           2
        .value_kind:     hidden_group_size_x
      - .offset:         174
        .size:           2
        .value_kind:     hidden_group_size_y
      - .offset:         176
        .size:           2
        .value_kind:     hidden_group_size_z
      - .offset:         178
        .size:           2
        .value_kind:     hidden_remainder_x
      - .offset:         180
        .size:           2
        .value_kind:     hidden_remainder_y
      - .offset:         182
        .size:           2
        .value_kind:     hidden_remainder_z
      - .offset:         200
        .size:           8
        .value_kind:     hidden_global_offset_x
      - .offset:         208
        .size:           8
        .value_kind:     hidden_global_offset_y
      - .offset:         216
        .size:           8
        .value_kind:     hidden_global_offset_z
      - .offset:         224
        .size:           2
        .value_kind:     hidden_grid_dims
      - .offset:         280
        .size:           4
        .value_kind:     hidden_dynamic_lds_size
    .group_segment_fixed_size: 0
    .kernarg_segment_align: 8
    .kernarg_segment_size: 416
    .language:       OpenCL C
    .language_version:
      - 2
      - 0
    .max_flat_workgroup_size: 1024
    .name:           _ZL12soft_max_f32ILb1ELi1024ELi1024E6__halfEvPKfPKT2_S2_Pf15soft_max_params
    .private_segment_fixed_size: 0
    .sgpr_count:     30
    .sgpr_spill_count: 0
    .symbol:         _ZL12soft_max_f32ILb1ELi1024ELi1024E6__halfEvPKfPKT2_S2_Pf15soft_max_params.kd
    .uniform_work_group_size: 1
    .uses_dynamic_stack: false
    .vgpr_count:     19
    .vgpr_spill_count: 0
    .wavefront_size: 32
    .workgroup_processor_mode: 1
  - .args:
      - .address_space:  global
        .offset:         0
        .size:           8
        .value_kind:     global_buffer
      - .address_space:  global
        .offset:         8
        .size:           8
        .value_kind:     global_buffer
      - .address_space:  global
        .offset:         16
        .size:           8
        .value_kind:     global_buffer
      - .address_space:  global
        .offset:         24
        .size:           8
        .value_kind:     global_buffer
      - .offset:         32
        .size:           128
        .value_kind:     by_value
      - .offset:         160
        .size:           4
        .value_kind:     hidden_block_count_x
      - .offset:         164
        .size:           4
        .value_kind:     hidden_block_count_y
      - .offset:         168
        .size:           4
        .value_kind:     hidden_block_count_z
      - .offset:         172
        .size:           2
        .value_kind:     hidden_group_size_x
      - .offset:         174
        .size:           2
        .value_kind:     hidden_group_size_y
      - .offset:         176
        .size:           2
        .value_kind:     hidden_group_size_z
      - .offset:         178
        .size:           2
        .value_kind:     hidden_remainder_x
      - .offset:         180
        .size:           2
        .value_kind:     hidden_remainder_y
      - .offset:         182
        .size:           2
        .value_kind:     hidden_remainder_z
      - .offset:         200
        .size:           8
        .value_kind:     hidden_global_offset_x
      - .offset:         208
        .size:           8
        .value_kind:     hidden_global_offset_y
      - .offset:         216
        .size:           8
        .value_kind:     hidden_global_offset_z
      - .offset:         224
        .size:           2
        .value_kind:     hidden_grid_dims
      - .offset:         280
        .size:           4
        .value_kind:     hidden_dynamic_lds_size
    .group_segment_fixed_size: 0
    .kernarg_segment_align: 8
    .kernarg_segment_size: 416
    .language:       OpenCL C
    .language_version:
      - 2
      - 0
    .max_flat_workgroup_size: 1024
    .name:           _ZL12soft_max_f32ILb1ELi512ELi512E6__halfEvPKfPKT2_S2_Pf15soft_max_params
    .private_segment_fixed_size: 0
    .sgpr_count:     30
    .sgpr_spill_count: 0
    .symbol:         _ZL12soft_max_f32ILb1ELi512ELi512E6__halfEvPKfPKT2_S2_Pf15soft_max_params.kd
    .uniform_work_group_size: 1
    .uses_dynamic_stack: false
    .vgpr_count:     19
    .vgpr_spill_count: 0
    .wavefront_size: 32
    .workgroup_processor_mode: 1
  - .args:
      - .address_space:  global
        .offset:         0
        .size:           8
        .value_kind:     global_buffer
      - .address_space:  global
        .offset:         8
        .size:           8
        .value_kind:     global_buffer
      - .address_space:  global
        .offset:         16
        .size:           8
        .value_kind:     global_buffer
      - .address_space:  global
        .offset:         24
        .size:           8
        .value_kind:     global_buffer
      - .offset:         32
        .size:           128
        .value_kind:     by_value
      - .offset:         160
        .size:           4
        .value_kind:     hidden_block_count_x
      - .offset:         164
        .size:           4
        .value_kind:     hidden_block_count_y
      - .offset:         168
        .size:           4
        .value_kind:     hidden_block_count_z
      - .offset:         172
        .size:           2
        .value_kind:     hidden_group_size_x
      - .offset:         174
        .size:           2
        .value_kind:     hidden_group_size_y
      - .offset:         176
        .size:           2
        .value_kind:     hidden_group_size_z
      - .offset:         178
        .size:           2
        .value_kind:     hidden_remainder_x
      - .offset:         180
        .size:           2
        .value_kind:     hidden_remainder_y
      - .offset:         182
        .size:           2
        .value_kind:     hidden_remainder_z
      - .offset:         200
        .size:           8
        .value_kind:     hidden_global_offset_x
      - .offset:         208
        .size:           8
        .value_kind:     hidden_global_offset_y
      - .offset:         216
        .size:           8
        .value_kind:     hidden_global_offset_z
      - .offset:         224
        .size:           2
        .value_kind:     hidden_grid_dims
      - .offset:         280
        .size:           4
        .value_kind:     hidden_dynamic_lds_size
    .group_segment_fixed_size: 0
    .kernarg_segment_align: 8
    .kernarg_segment_size: 416
    .language:       OpenCL C
    .language_version:
      - 2
      - 0
    .max_flat_workgroup_size: 1024
    .name:           _ZL12soft_max_f32ILb1ELi256ELi256E6__halfEvPKfPKT2_S2_Pf15soft_max_params
    .private_segment_fixed_size: 0
    .sgpr_count:     30
    .sgpr_spill_count: 0
    .symbol:         _ZL12soft_max_f32ILb1ELi256ELi256E6__halfEvPKfPKT2_S2_Pf15soft_max_params.kd
    .uniform_work_group_size: 1
    .uses_dynamic_stack: false
    .vgpr_count:     19
    .vgpr_spill_count: 0
    .wavefront_size: 32
    .workgroup_processor_mode: 1
  - .args:
      - .address_space:  global
        .offset:         0
        .size:           8
        .value_kind:     global_buffer
      - .address_space:  global
        .offset:         8
        .size:           8
        .value_kind:     global_buffer
      - .address_space:  global
        .offset:         16
        .size:           8
        .value_kind:     global_buffer
      - .address_space:  global
        .offset:         24
        .size:           8
        .value_kind:     global_buffer
      - .offset:         32
        .size:           128
        .value_kind:     by_value
      - .offset:         160
        .size:           4
        .value_kind:     hidden_block_count_x
      - .offset:         164
        .size:           4
        .value_kind:     hidden_block_count_y
      - .offset:         168
        .size:           4
        .value_kind:     hidden_block_count_z
      - .offset:         172
        .size:           2
        .value_kind:     hidden_group_size_x
      - .offset:         174
        .size:           2
        .value_kind:     hidden_group_size_y
      - .offset:         176
        .size:           2
        .value_kind:     hidden_group_size_z
      - .offset:         178
        .size:           2
        .value_kind:     hidden_remainder_x
      - .offset:         180
        .size:           2
        .value_kind:     hidden_remainder_y
      - .offset:         182
        .size:           2
        .value_kind:     hidden_remainder_z
      - .offset:         200
        .size:           8
        .value_kind:     hidden_global_offset_x
      - .offset:         208
        .size:           8
        .value_kind:     hidden_global_offset_y
      - .offset:         216
        .size:           8
        .value_kind:     hidden_global_offset_z
      - .offset:         224
        .size:           2
        .value_kind:     hidden_grid_dims
      - .offset:         280
        .size:           4
        .value_kind:     hidden_dynamic_lds_size
    .group_segment_fixed_size: 0
    .kernarg_segment_align: 8
    .kernarg_segment_size: 416
    .language:       OpenCL C
    .language_version:
      - 2
      - 0
    .max_flat_workgroup_size: 1024
    .name:           _ZL12soft_max_f32ILb1ELi128ELi128E6__halfEvPKfPKT2_S2_Pf15soft_max_params
    .private_segment_fixed_size: 0
    .sgpr_count:     30
    .sgpr_spill_count: 0
    .symbol:         _ZL12soft_max_f32ILb1ELi128ELi128E6__halfEvPKfPKT2_S2_Pf15soft_max_params.kd
    .uniform_work_group_size: 1
    .uses_dynamic_stack: false
    .vgpr_count:     19
    .vgpr_spill_count: 0
    .wavefront_size: 32
    .workgroup_processor_mode: 1
  - .args:
      - .address_space:  global
        .offset:         0
        .size:           8
        .value_kind:     global_buffer
      - .address_space:  global
        .offset:         8
        .size:           8
        .value_kind:     global_buffer
      - .address_space:  global
        .offset:         16
        .size:           8
        .value_kind:     global_buffer
      - .address_space:  global
        .offset:         24
        .size:           8
        .value_kind:     global_buffer
      - .offset:         32
        .size:           128
        .value_kind:     by_value
      - .offset:         160
        .size:           4
        .value_kind:     hidden_block_count_x
      - .offset:         164
        .size:           4
        .value_kind:     hidden_block_count_y
      - .offset:         168
        .size:           4
        .value_kind:     hidden_block_count_z
      - .offset:         172
        .size:           2
        .value_kind:     hidden_group_size_x
      - .offset:         174
        .size:           2
        .value_kind:     hidden_group_size_y
      - .offset:         176
        .size:           2
        .value_kind:     hidden_group_size_z
      - .offset:         178
        .size:           2
        .value_kind:     hidden_remainder_x
      - .offset:         180
        .size:           2
        .value_kind:     hidden_remainder_y
      - .offset:         182
        .size:           2
        .value_kind:     hidden_remainder_z
      - .offset:         200
        .size:           8
        .value_kind:     hidden_global_offset_x
      - .offset:         208
        .size:           8
        .value_kind:     hidden_global_offset_y
      - .offset:         216
        .size:           8
        .value_kind:     hidden_global_offset_z
      - .offset:         224
        .size:           2
        .value_kind:     hidden_grid_dims
      - .offset:         280
        .size:           4
        .value_kind:     hidden_dynamic_lds_size
    .group_segment_fixed_size: 0
    .kernarg_segment_align: 8
    .kernarg_segment_size: 416
    .language:       OpenCL C
    .language_version:
      - 2
      - 0
    .max_flat_workgroup_size: 1024
    .name:           _ZL12soft_max_f32ILb1ELi64ELi64E6__halfEvPKfPKT2_S2_Pf15soft_max_params
    .private_segment_fixed_size: 0
    .sgpr_count:     30
    .sgpr_spill_count: 0
    .symbol:         _ZL12soft_max_f32ILb1ELi64ELi64E6__halfEvPKfPKT2_S2_Pf15soft_max_params.kd
    .uniform_work_group_size: 1
    .uses_dynamic_stack: false
    .vgpr_count:     19
    .vgpr_spill_count: 0
    .wavefront_size: 32
    .workgroup_processor_mode: 1
  - .args:
      - .address_space:  global
        .offset:         0
        .size:           8
        .value_kind:     global_buffer
      - .address_space:  global
        .offset:         8
        .size:           8
        .value_kind:     global_buffer
      - .address_space:  global
        .offset:         16
        .size:           8
        .value_kind:     global_buffer
      - .address_space:  global
        .offset:         24
        .size:           8
        .value_kind:     global_buffer
      - .offset:         32
        .size:           128
        .value_kind:     by_value
      - .offset:         160
        .size:           4
        .value_kind:     hidden_block_count_x
      - .offset:         164
        .size:           4
        .value_kind:     hidden_block_count_y
      - .offset:         168
        .size:           4
        .value_kind:     hidden_block_count_z
      - .offset:         172
        .size:           2
        .value_kind:     hidden_group_size_x
      - .offset:         174
        .size:           2
        .value_kind:     hidden_group_size_y
      - .offset:         176
        .size:           2
        .value_kind:     hidden_group_size_z
      - .offset:         178
        .size:           2
        .value_kind:     hidden_remainder_x
      - .offset:         180
        .size:           2
        .value_kind:     hidden_remainder_y
      - .offset:         182
        .size:           2
        .value_kind:     hidden_remainder_z
      - .offset:         200
        .size:           8
        .value_kind:     hidden_global_offset_x
      - .offset:         208
        .size:           8
        .value_kind:     hidden_global_offset_y
      - .offset:         216
        .size:           8
        .value_kind:     hidden_global_offset_z
      - .offset:         224
        .size:           2
        .value_kind:     hidden_grid_dims
      - .offset:         280
        .size:           4
        .value_kind:     hidden_dynamic_lds_size
    .group_segment_fixed_size: 0
    .kernarg_segment_align: 8
    .kernarg_segment_size: 416
    .language:       OpenCL C
    .language_version:
      - 2
      - 0
    .max_flat_workgroup_size: 1024
    .name:           _ZL12soft_max_f32ILb1ELi32ELi32E6__halfEvPKfPKT2_S2_Pf15soft_max_params
    .private_segment_fixed_size: 0
    .sgpr_count:     30
    .sgpr_spill_count: 0
    .symbol:         _ZL12soft_max_f32ILb1ELi32ELi32E6__halfEvPKfPKT2_S2_Pf15soft_max_params.kd
    .uniform_work_group_size: 1
    .uses_dynamic_stack: false
    .vgpr_count:     19
    .vgpr_spill_count: 0
    .wavefront_size: 32
    .workgroup_processor_mode: 1
  - .args:
      - .address_space:  global
        .offset:         0
        .size:           8
        .value_kind:     global_buffer
      - .address_space:  global
        .offset:         8
        .size:           8
        .value_kind:     global_buffer
      - .address_space:  global
        .offset:         16
        .size:           8
        .value_kind:     global_buffer
      - .address_space:  global
        .offset:         24
        .size:           8
        .value_kind:     global_buffer
      - .offset:         32
        .size:           128
        .value_kind:     by_value
      - .offset:         160
        .size:           4
        .value_kind:     hidden_block_count_x
      - .offset:         164
        .size:           4
        .value_kind:     hidden_block_count_y
      - .offset:         168
        .size:           4
        .value_kind:     hidden_block_count_z
      - .offset:         172
        .size:           2
        .value_kind:     hidden_group_size_x
      - .offset:         174
        .size:           2
        .value_kind:     hidden_group_size_y
      - .offset:         176
        .size:           2
        .value_kind:     hidden_group_size_z
      - .offset:         178
        .size:           2
        .value_kind:     hidden_remainder_x
      - .offset:         180
        .size:           2
        .value_kind:     hidden_remainder_y
      - .offset:         182
        .size:           2
        .value_kind:     hidden_remainder_z
      - .offset:         200
        .size:           8
        .value_kind:     hidden_global_offset_x
      - .offset:         208
        .size:           8
        .value_kind:     hidden_global_offset_y
      - .offset:         216
        .size:           8
        .value_kind:     hidden_global_offset_z
      - .offset:         224
        .size:           2
        .value_kind:     hidden_grid_dims
      - .offset:         240
        .size:           8
        .value_kind:     hidden_hostcall_buffer
      - .offset:         280
        .size:           4
        .value_kind:     hidden_dynamic_lds_size
    .group_segment_fixed_size: 0
    .kernarg_segment_align: 8
    .kernarg_segment_size: 416
    .language:       OpenCL C
    .language_version:
      - 2
      - 0
    .max_flat_workgroup_size: 1024
    .name:           _ZL12soft_max_f32ILb1ELi0ELi0E6__halfEvPKfPKT2_S2_Pf15soft_max_params
    .private_segment_fixed_size: 64
    .sgpr_count:     46
    .sgpr_spill_count: 0
    .symbol:         _ZL12soft_max_f32ILb1ELi0ELi0E6__halfEvPKfPKT2_S2_Pf15soft_max_params.kd
    .uniform_work_group_size: 1
    .uses_dynamic_stack: false
    .vgpr_count:     54
    .vgpr_spill_count: 0
    .wavefront_size: 32
    .workgroup_processor_mode: 1
  - .args:
      - .address_space:  global
        .offset:         0
        .size:           8
        .value_kind:     global_buffer
      - .address_space:  global
        .offset:         8
        .size:           8
        .value_kind:     global_buffer
      - .address_space:  global
        .offset:         16
        .size:           8
        .value_kind:     global_buffer
      - .address_space:  global
        .offset:         24
        .size:           8
        .value_kind:     global_buffer
      - .offset:         32
        .size:           128
        .value_kind:     by_value
      - .offset:         160
        .size:           4
        .value_kind:     hidden_block_count_x
      - .offset:         164
        .size:           4
        .value_kind:     hidden_block_count_y
      - .offset:         168
        .size:           4
        .value_kind:     hidden_block_count_z
      - .offset:         172
        .size:           2
        .value_kind:     hidden_group_size_x
      - .offset:         174
        .size:           2
        .value_kind:     hidden_group_size_y
      - .offset:         176
        .size:           2
        .value_kind:     hidden_group_size_z
      - .offset:         178
        .size:           2
        .value_kind:     hidden_remainder_x
      - .offset:         180
        .size:           2
        .value_kind:     hidden_remainder_y
      - .offset:         182
        .size:           2
        .value_kind:     hidden_remainder_z
      - .offset:         200
        .size:           8
        .value_kind:     hidden_global_offset_x
      - .offset:         208
        .size:           8
        .value_kind:     hidden_global_offset_y
      - .offset:         216
        .size:           8
        .value_kind:     hidden_global_offset_z
      - .offset:         224
        .size:           2
        .value_kind:     hidden_grid_dims
      - .offset:         240
        .size:           8
        .value_kind:     hidden_hostcall_buffer
      - .offset:         280
        .size:           4
        .value_kind:     hidden_dynamic_lds_size
    .group_segment_fixed_size: 0
    .kernarg_segment_align: 8
    .kernarg_segment_size: 416
    .language:       OpenCL C
    .language_version:
      - 2
      - 0
    .max_flat_workgroup_size: 1024
    .name:           _ZL12soft_max_f32ILb0ELi0ELi0E6__halfEvPKfPKT2_S2_Pf15soft_max_params
    .private_segment_fixed_size: 64
    .sgpr_count:     46
    .sgpr_spill_count: 0
    .symbol:         _ZL12soft_max_f32ILb0ELi0ELi0E6__halfEvPKfPKT2_S2_Pf15soft_max_params.kd
    .uniform_work_group_size: 1
    .uses_dynamic_stack: false
    .vgpr_count:     54
    .vgpr_spill_count: 0
    .wavefront_size: 32
    .workgroup_processor_mode: 1
  - .args:
      - .address_space:  global
        .offset:         0
        .size:           8
        .value_kind:     global_buffer
      - .address_space:  global
        .offset:         8
        .size:           8
        .value_kind:     global_buffer
      - .address_space:  global
        .offset:         16
        .size:           8
        .value_kind:     global_buffer
      - .address_space:  global
        .offset:         24
        .size:           8
        .value_kind:     global_buffer
      - .offset:         32
        .size:           128
        .value_kind:     by_value
      - .offset:         160
        .size:           4
        .value_kind:     hidden_block_count_x
      - .offset:         164
        .size:           4
        .value_kind:     hidden_block_count_y
      - .offset:         168
        .size:           4
        .value_kind:     hidden_block_count_z
      - .offset:         172
        .size:           2
        .value_kind:     hidden_group_size_x
      - .offset:         174
        .size:           2
        .value_kind:     hidden_group_size_y
      - .offset:         176
        .size:           2
        .value_kind:     hidden_group_size_z
      - .offset:         178
        .size:           2
        .value_kind:     hidden_remainder_x
      - .offset:         180
        .size:           2
        .value_kind:     hidden_remainder_y
      - .offset:         182
        .size:           2
        .value_kind:     hidden_remainder_z
      - .offset:         200
        .size:           8
        .value_kind:     hidden_global_offset_x
      - .offset:         208
        .size:           8
        .value_kind:     hidden_global_offset_y
      - .offset:         216
        .size:           8
        .value_kind:     hidden_global_offset_z
      - .offset:         224
        .size:           2
        .value_kind:     hidden_grid_dims
      - .offset:         280
        .size:           4
        .value_kind:     hidden_dynamic_lds_size
    .group_segment_fixed_size: 0
    .kernarg_segment_align: 8
    .kernarg_segment_size: 416
    .language:       OpenCL C
    .language_version:
      - 2
      - 0
    .max_flat_workgroup_size: 1024
    .name:           _ZL12soft_max_f32ILb1ELi4096ELi1024EfEvPKfPKT2_S1_Pf15soft_max_params
    .private_segment_fixed_size: 0
    .sgpr_count:     30
    .sgpr_spill_count: 0
    .symbol:         _ZL12soft_max_f32ILb1ELi4096ELi1024EfEvPKfPKT2_S1_Pf15soft_max_params.kd
    .uniform_work_group_size: 1
    .uses_dynamic_stack: false
    .vgpr_count:     29
    .vgpr_spill_count: 0
    .wavefront_size: 32
    .workgroup_processor_mode: 1
  - .args:
      - .address_space:  global
        .offset:         0
        .size:           8
        .value_kind:     global_buffer
      - .address_space:  global
        .offset:         8
        .size:           8
        .value_kind:     global_buffer
      - .address_space:  global
        .offset:         16
        .size:           8
        .value_kind:     global_buffer
      - .address_space:  global
        .offset:         24
        .size:           8
        .value_kind:     global_buffer
      - .offset:         32
        .size:           128
        .value_kind:     by_value
      - .offset:         160
        .size:           4
        .value_kind:     hidden_block_count_x
      - .offset:         164
        .size:           4
        .value_kind:     hidden_block_count_y
      - .offset:         168
        .size:           4
        .value_kind:     hidden_block_count_z
      - .offset:         172
        .size:           2
        .value_kind:     hidden_group_size_x
      - .offset:         174
        .size:           2
        .value_kind:     hidden_group_size_y
      - .offset:         176
        .size:           2
        .value_kind:     hidden_group_size_z
      - .offset:         178
        .size:           2
        .value_kind:     hidden_remainder_x
      - .offset:         180
        .size:           2
        .value_kind:     hidden_remainder_y
      - .offset:         182
        .size:           2
        .value_kind:     hidden_remainder_z
      - .offset:         200
        .size:           8
        .value_kind:     hidden_global_offset_x
      - .offset:         208
        .size:           8
        .value_kind:     hidden_global_offset_y
      - .offset:         216
        .size:           8
        .value_kind:     hidden_global_offset_z
      - .offset:         224
        .size:           2
        .value_kind:     hidden_grid_dims
      - .offset:         280
        .size:           4
        .value_kind:     hidden_dynamic_lds_size
    .group_segment_fixed_size: 0
    .kernarg_segment_align: 8
    .kernarg_segment_size: 416
    .language:       OpenCL C
    .language_version:
      - 2
      - 0
    .max_flat_workgroup_size: 1024
    .name:           _ZL12soft_max_f32ILb1ELi2048ELi1024EfEvPKfPKT2_S1_Pf15soft_max_params
    .private_segment_fixed_size: 0
    .sgpr_count:     30
    .sgpr_spill_count: 0
    .symbol:         _ZL12soft_max_f32ILb1ELi2048ELi1024EfEvPKfPKT2_S1_Pf15soft_max_params.kd
    .uniform_work_group_size: 1
    .uses_dynamic_stack: false
    .vgpr_count:     20
    .vgpr_spill_count: 0
    .wavefront_size: 32
    .workgroup_processor_mode: 1
  - .args:
      - .address_space:  global
        .offset:         0
        .size:           8
        .value_kind:     global_buffer
      - .address_space:  global
        .offset:         8
        .size:           8
        .value_kind:     global_buffer
      - .address_space:  global
        .offset:         16
        .size:           8
        .value_kind:     global_buffer
      - .address_space:  global
        .offset:         24
        .size:           8
        .value_kind:     global_buffer
      - .offset:         32
        .size:           128
        .value_kind:     by_value
      - .offset:         160
        .size:           4
        .value_kind:     hidden_block_count_x
      - .offset:         164
        .size:           4
        .value_kind:     hidden_block_count_y
      - .offset:         168
        .size:           4
        .value_kind:     hidden_block_count_z
      - .offset:         172
        .size:           2
        .value_kind:     hidden_group_size_x
      - .offset:         174
        .size:           2
        .value_kind:     hidden_group_size_y
      - .offset:         176
        .size:           2
        .value_kind:     hidden_group_size_z
      - .offset:         178
        .size:           2
        .value_kind:     hidden_remainder_x
      - .offset:         180
        .size:           2
        .value_kind:     hidden_remainder_y
      - .offset:         182
        .size:           2
        .value_kind:     hidden_remainder_z
      - .offset:         200
        .size:           8
        .value_kind:     hidden_global_offset_x
      - .offset:         208
        .size:           8
        .value_kind:     hidden_global_offset_y
      - .offset:         216
        .size:           8
        .value_kind:     hidden_global_offset_z
      - .offset:         224
        .size:           2
        .value_kind:     hidden_grid_dims
      - .offset:         280
        .size:           4
        .value_kind:     hidden_dynamic_lds_size
    .group_segment_fixed_size: 0
    .kernarg_segment_align: 8
    .kernarg_segment_size: 416
    .language:       OpenCL C
    .language_version:
      - 2
      - 0
    .max_flat_workgroup_size: 1024
    .name:           _ZL12soft_max_f32ILb1ELi1024ELi1024EfEvPKfPKT2_S1_Pf15soft_max_params
    .private_segment_fixed_size: 0
    .sgpr_count:     30
    .sgpr_spill_count: 0
    .symbol:         _ZL12soft_max_f32ILb1ELi1024ELi1024EfEvPKfPKT2_S1_Pf15soft_max_params.kd
    .uniform_work_group_size: 1
    .uses_dynamic_stack: false
    .vgpr_count:     19
    .vgpr_spill_count: 0
    .wavefront_size: 32
    .workgroup_processor_mode: 1
  - .args:
      - .address_space:  global
        .offset:         0
        .size:           8
        .value_kind:     global_buffer
      - .address_space:  global
        .offset:         8
        .size:           8
        .value_kind:     global_buffer
      - .address_space:  global
        .offset:         16
        .size:           8
        .value_kind:     global_buffer
      - .address_space:  global
        .offset:         24
        .size:           8
        .value_kind:     global_buffer
      - .offset:         32
        .size:           128
        .value_kind:     by_value
      - .offset:         160
        .size:           4
        .value_kind:     hidden_block_count_x
      - .offset:         164
        .size:           4
        .value_kind:     hidden_block_count_y
      - .offset:         168
        .size:           4
        .value_kind:     hidden_block_count_z
      - .offset:         172
        .size:           2
        .value_kind:     hidden_group_size_x
      - .offset:         174
        .size:           2
        .value_kind:     hidden_group_size_y
      - .offset:         176
        .size:           2
        .value_kind:     hidden_group_size_z
      - .offset:         178
        .size:           2
        .value_kind:     hidden_remainder_x
      - .offset:         180
        .size:           2
        .value_kind:     hidden_remainder_y
      - .offset:         182
        .size:           2
        .value_kind:     hidden_remainder_z
      - .offset:         200
        .size:           8
        .value_kind:     hidden_global_offset_x
      - .offset:         208
        .size:           8
        .value_kind:     hidden_global_offset_y
      - .offset:         216
        .size:           8
        .value_kind:     hidden_global_offset_z
      - .offset:         224
        .size:           2
        .value_kind:     hidden_grid_dims
      - .offset:         280
        .size:           4
        .value_kind:     hidden_dynamic_lds_size
    .group_segment_fixed_size: 0
    .kernarg_segment_align: 8
    .kernarg_segment_size: 416
    .language:       OpenCL C
    .language_version:
      - 2
      - 0
    .max_flat_workgroup_size: 1024
    .name:           _ZL12soft_max_f32ILb1ELi512ELi512EfEvPKfPKT2_S1_Pf15soft_max_params
    .private_segment_fixed_size: 0
    .sgpr_count:     30
    .sgpr_spill_count: 0
    .symbol:         _ZL12soft_max_f32ILb1ELi512ELi512EfEvPKfPKT2_S1_Pf15soft_max_params.kd
    .uniform_work_group_size: 1
    .uses_dynamic_stack: false
    .vgpr_count:     19
    .vgpr_spill_count: 0
    .wavefront_size: 32
    .workgroup_processor_mode: 1
  - .args:
      - .address_space:  global
        .offset:         0
        .size:           8
        .value_kind:     global_buffer
      - .address_space:  global
        .offset:         8
        .size:           8
        .value_kind:     global_buffer
      - .address_space:  global
        .offset:         16
        .size:           8
        .value_kind:     global_buffer
      - .address_space:  global
        .offset:         24
        .size:           8
        .value_kind:     global_buffer
      - .offset:         32
        .size:           128
        .value_kind:     by_value
      - .offset:         160
        .size:           4
        .value_kind:     hidden_block_count_x
      - .offset:         164
        .size:           4
        .value_kind:     hidden_block_count_y
      - .offset:         168
        .size:           4
        .value_kind:     hidden_block_count_z
      - .offset:         172
        .size:           2
        .value_kind:     hidden_group_size_x
      - .offset:         174
        .size:           2
        .value_kind:     hidden_group_size_y
      - .offset:         176
        .size:           2
        .value_kind:     hidden_group_size_z
      - .offset:         178
        .size:           2
        .value_kind:     hidden_remainder_x
      - .offset:         180
        .size:           2
        .value_kind:     hidden_remainder_y
      - .offset:         182
        .size:           2
        .value_kind:     hidden_remainder_z
      - .offset:         200
        .size:           8
        .value_kind:     hidden_global_offset_x
      - .offset:         208
        .size:           8
        .value_kind:     hidden_global_offset_y
      - .offset:         216
        .size:           8
        .value_kind:     hidden_global_offset_z
      - .offset:         224
        .size:           2
        .value_kind:     hidden_grid_dims
      - .offset:         280
        .size:           4
        .value_kind:     hidden_dynamic_lds_size
    .group_segment_fixed_size: 0
    .kernarg_segment_align: 8
    .kernarg_segment_size: 416
    .language:       OpenCL C
    .language_version:
      - 2
      - 0
    .max_flat_workgroup_size: 1024
    .name:           _ZL12soft_max_f32ILb1ELi256ELi256EfEvPKfPKT2_S1_Pf15soft_max_params
    .private_segment_fixed_size: 0
    .sgpr_count:     30
    .sgpr_spill_count: 0
    .symbol:         _ZL12soft_max_f32ILb1ELi256ELi256EfEvPKfPKT2_S1_Pf15soft_max_params.kd
    .uniform_work_group_size: 1
    .uses_dynamic_stack: false
    .vgpr_count:     19
    .vgpr_spill_count: 0
    .wavefront_size: 32
    .workgroup_processor_mode: 1
  - .args:
      - .address_space:  global
        .offset:         0
        .size:           8
        .value_kind:     global_buffer
      - .address_space:  global
        .offset:         8
        .size:           8
        .value_kind:     global_buffer
      - .address_space:  global
        .offset:         16
        .size:           8
        .value_kind:     global_buffer
      - .address_space:  global
        .offset:         24
        .size:           8
        .value_kind:     global_buffer
      - .offset:         32
        .size:           128
        .value_kind:     by_value
      - .offset:         160
        .size:           4
        .value_kind:     hidden_block_count_x
      - .offset:         164
        .size:           4
        .value_kind:     hidden_block_count_y
      - .offset:         168
        .size:           4
        .value_kind:     hidden_block_count_z
      - .offset:         172
        .size:           2
        .value_kind:     hidden_group_size_x
      - .offset:         174
        .size:           2
        .value_kind:     hidden_group_size_y
      - .offset:         176
        .size:           2
        .value_kind:     hidden_group_size_z
      - .offset:         178
        .size:           2
        .value_kind:     hidden_remainder_x
      - .offset:         180
        .size:           2
        .value_kind:     hidden_remainder_y
      - .offset:         182
        .size:           2
        .value_kind:     hidden_remainder_z
      - .offset:         200
        .size:           8
        .value_kind:     hidden_global_offset_x
      - .offset:         208
        .size:           8
        .value_kind:     hidden_global_offset_y
      - .offset:         216
        .size:           8
        .value_kind:     hidden_global_offset_z
      - .offset:         224
        .size:           2
        .value_kind:     hidden_grid_dims
      - .offset:         280
        .size:           4
        .value_kind:     hidden_dynamic_lds_size
    .group_segment_fixed_size: 0
    .kernarg_segment_align: 8
    .kernarg_segment_size: 416
    .language:       OpenCL C
    .language_version:
      - 2
      - 0
    .max_flat_workgroup_size: 1024
    .name:           _ZL12soft_max_f32ILb1ELi128ELi128EfEvPKfPKT2_S1_Pf15soft_max_params
    .private_segment_fixed_size: 0
    .sgpr_count:     30
    .sgpr_spill_count: 0
    .symbol:         _ZL12soft_max_f32ILb1ELi128ELi128EfEvPKfPKT2_S1_Pf15soft_max_params.kd
    .uniform_work_group_size: 1
    .uses_dynamic_stack: false
    .vgpr_count:     19
    .vgpr_spill_count: 0
    .wavefront_size: 32
    .workgroup_processor_mode: 1
  - .args:
      - .address_space:  global
        .offset:         0
        .size:           8
        .value_kind:     global_buffer
      - .address_space:  global
        .offset:         8
        .size:           8
        .value_kind:     global_buffer
      - .address_space:  global
        .offset:         16
        .size:           8
        .value_kind:     global_buffer
      - .address_space:  global
        .offset:         24
        .size:           8
        .value_kind:     global_buffer
      - .offset:         32
        .size:           128
        .value_kind:     by_value
      - .offset:         160
        .size:           4
        .value_kind:     hidden_block_count_x
      - .offset:         164
        .size:           4
        .value_kind:     hidden_block_count_y
      - .offset:         168
        .size:           4
        .value_kind:     hidden_block_count_z
      - .offset:         172
        .size:           2
        .value_kind:     hidden_group_size_x
      - .offset:         174
        .size:           2
        .value_kind:     hidden_group_size_y
      - .offset:         176
        .size:           2
        .value_kind:     hidden_group_size_z
      - .offset:         178
        .size:           2
        .value_kind:     hidden_remainder_x
      - .offset:         180
        .size:           2
        .value_kind:     hidden_remainder_y
      - .offset:         182
        .size:           2
        .value_kind:     hidden_remainder_z
      - .offset:         200
        .size:           8
        .value_kind:     hidden_global_offset_x
      - .offset:         208
        .size:           8
        .value_kind:     hidden_global_offset_y
      - .offset:         216
        .size:           8
        .value_kind:     hidden_global_offset_z
      - .offset:         224
        .size:           2
        .value_kind:     hidden_grid_dims
      - .offset:         280
        .size:           4
        .value_kind:     hidden_dynamic_lds_size
    .group_segment_fixed_size: 0
    .kernarg_segment_align: 8
    .kernarg_segment_size: 416
    .language:       OpenCL C
    .language_version:
      - 2
      - 0
    .max_flat_workgroup_size: 1024
    .name:           _ZL12soft_max_f32ILb1ELi64ELi64EfEvPKfPKT2_S1_Pf15soft_max_params
    .private_segment_fixed_size: 0
    .sgpr_count:     30
    .sgpr_spill_count: 0
    .symbol:         _ZL12soft_max_f32ILb1ELi64ELi64EfEvPKfPKT2_S1_Pf15soft_max_params.kd
    .uniform_work_group_size: 1
    .uses_dynamic_stack: false
    .vgpr_count:     19
    .vgpr_spill_count: 0
    .wavefront_size: 32
    .workgroup_processor_mode: 1
  - .args:
      - .address_space:  global
        .offset:         0
        .size:           8
        .value_kind:     global_buffer
      - .address_space:  global
        .offset:         8
        .size:           8
        .value_kind:     global_buffer
      - .address_space:  global
        .offset:         16
        .size:           8
        .value_kind:     global_buffer
      - .address_space:  global
        .offset:         24
        .size:           8
        .value_kind:     global_buffer
      - .offset:         32
        .size:           128
        .value_kind:     by_value
      - .offset:         160
        .size:           4
        .value_kind:     hidden_block_count_x
      - .offset:         164
        .size:           4
        .value_kind:     hidden_block_count_y
      - .offset:         168
        .size:           4
        .value_kind:     hidden_block_count_z
      - .offset:         172
        .size:           2
        .value_kind:     hidden_group_size_x
      - .offset:         174
        .size:           2
        .value_kind:     hidden_group_size_y
      - .offset:         176
        .size:           2
        .value_kind:     hidden_group_size_z
      - .offset:         178
        .size:           2
        .value_kind:     hidden_remainder_x
      - .offset:         180
        .size:           2
        .value_kind:     hidden_remainder_y
      - .offset:         182
        .size:           2
        .value_kind:     hidden_remainder_z
      - .offset:         200
        .size:           8
        .value_kind:     hidden_global_offset_x
      - .offset:         208
        .size:           8
        .value_kind:     hidden_global_offset_y
      - .offset:         216
        .size:           8
        .value_kind:     hidden_global_offset_z
      - .offset:         224
        .size:           2
        .value_kind:     hidden_grid_dims
      - .offset:         280
        .size:           4
        .value_kind:     hidden_dynamic_lds_size
    .group_segment_fixed_size: 0
    .kernarg_segment_align: 8
    .kernarg_segment_size: 416
    .language:       OpenCL C
    .language_version:
      - 2
      - 0
    .max_flat_workgroup_size: 1024
    .name:           _ZL12soft_max_f32ILb1ELi32ELi32EfEvPKfPKT2_S1_Pf15soft_max_params
    .private_segment_fixed_size: 0
    .sgpr_count:     30
    .sgpr_spill_count: 0
    .symbol:         _ZL12soft_max_f32ILb1ELi32ELi32EfEvPKfPKT2_S1_Pf15soft_max_params.kd
    .uniform_work_group_size: 1
    .uses_dynamic_stack: false
    .vgpr_count:     19
    .vgpr_spill_count: 0
    .wavefront_size: 32
    .workgroup_processor_mode: 1
  - .args:
      - .address_space:  global
        .offset:         0
        .size:           8
        .value_kind:     global_buffer
      - .address_space:  global
        .offset:         8
        .size:           8
        .value_kind:     global_buffer
      - .address_space:  global
        .offset:         16
        .size:           8
        .value_kind:     global_buffer
      - .address_space:  global
        .offset:         24
        .size:           8
        .value_kind:     global_buffer
      - .offset:         32
        .size:           128
        .value_kind:     by_value
      - .offset:         160
        .size:           4
        .value_kind:     hidden_block_count_x
      - .offset:         164
        .size:           4
        .value_kind:     hidden_block_count_y
      - .offset:         168
        .size:           4
        .value_kind:     hidden_block_count_z
      - .offset:         172
        .size:           2
        .value_kind:     hidden_group_size_x
      - .offset:         174
        .size:           2
        .value_kind:     hidden_group_size_y
      - .offset:         176
        .size:           2
        .value_kind:     hidden_group_size_z
      - .offset:         178
        .size:           2
        .value_kind:     hidden_remainder_x
      - .offset:         180
        .size:           2
        .value_kind:     hidden_remainder_y
      - .offset:         182
        .size:           2
        .value_kind:     hidden_remainder_z
      - .offset:         200
        .size:           8
        .value_kind:     hidden_global_offset_x
      - .offset:         208
        .size:           8
        .value_kind:     hidden_global_offset_y
      - .offset:         216
        .size:           8
        .value_kind:     hidden_global_offset_z
      - .offset:         224
        .size:           2
        .value_kind:     hidden_grid_dims
      - .offset:         240
        .size:           8
        .value_kind:     hidden_hostcall_buffer
      - .offset:         280
        .size:           4
        .value_kind:     hidden_dynamic_lds_size
    .group_segment_fixed_size: 0
    .kernarg_segment_align: 8
    .kernarg_segment_size: 416
    .language:       OpenCL C
    .language_version:
      - 2
      - 0
    .max_flat_workgroup_size: 1024
    .name:           _ZL12soft_max_f32ILb1ELi0ELi0EfEvPKfPKT2_S1_Pf15soft_max_params
    .private_segment_fixed_size: 64
    .sgpr_count:     46
    .sgpr_spill_count: 0
    .symbol:         _ZL12soft_max_f32ILb1ELi0ELi0EfEvPKfPKT2_S1_Pf15soft_max_params.kd
    .uniform_work_group_size: 1
    .uses_dynamic_stack: false
    .vgpr_count:     54
    .vgpr_spill_count: 0
    .wavefront_size: 32
    .workgroup_processor_mode: 1
  - .args:
      - .address_space:  global
        .offset:         0
        .size:           8
        .value_kind:     global_buffer
      - .address_space:  global
        .offset:         8
        .size:           8
        .value_kind:     global_buffer
      - .address_space:  global
        .offset:         16
        .size:           8
        .value_kind:     global_buffer
      - .address_space:  global
        .offset:         24
        .size:           8
        .value_kind:     global_buffer
      - .offset:         32
        .size:           128
        .value_kind:     by_value
      - .offset:         160
        .size:           4
        .value_kind:     hidden_block_count_x
      - .offset:         164
        .size:           4
        .value_kind:     hidden_block_count_y
      - .offset:         168
        .size:           4
        .value_kind:     hidden_block_count_z
      - .offset:         172
        .size:           2
        .value_kind:     hidden_group_size_x
      - .offset:         174
        .size:           2
        .value_kind:     hidden_group_size_y
      - .offset:         176
        .size:           2
        .value_kind:     hidden_group_size_z
      - .offset:         178
        .size:           2
        .value_kind:     hidden_remainder_x
      - .offset:         180
        .size:           2
        .value_kind:     hidden_remainder_y
      - .offset:         182
        .size:           2
        .value_kind:     hidden_remainder_z
      - .offset:         200
        .size:           8
        .value_kind:     hidden_global_offset_x
      - .offset:         208
        .size:           8
        .value_kind:     hidden_global_offset_y
      - .offset:         216
        .size:           8
        .value_kind:     hidden_global_offset_z
      - .offset:         224
        .size:           2
        .value_kind:     hidden_grid_dims
      - .offset:         240
        .size:           8
        .value_kind:     hidden_hostcall_buffer
      - .offset:         280
        .size:           4
        .value_kind:     hidden_dynamic_lds_size
    .group_segment_fixed_size: 0
    .kernarg_segment_align: 8
    .kernarg_segment_size: 416
    .language:       OpenCL C
    .language_version:
      - 2
      - 0
    .max_flat_workgroup_size: 1024
    .name:           _ZL12soft_max_f32ILb0ELi0ELi0EfEvPKfPKT2_S1_Pf15soft_max_params
    .private_segment_fixed_size: 64
    .sgpr_count:     46
    .sgpr_spill_count: 0
    .symbol:         _ZL12soft_max_f32ILb0ELi0ELi0EfEvPKfPKT2_S1_Pf15soft_max_params.kd
    .uniform_work_group_size: 1
    .uses_dynamic_stack: false
    .vgpr_count:     54
    .vgpr_spill_count: 0
    .wavefront_size: 32
    .workgroup_processor_mode: 1
amdhsa.target:   amdgcn-amd-amdhsa--gfx1100
amdhsa.version:
  - 1
  - 2
...

	.end_amdgpu_metadata
